;; amdgpu-corpus repo=ROCm/rocFFT kind=compiled arch=gfx1201 opt=O3
	.text
	.amdgcn_target "amdgcn-amd-amdhsa--gfx1201"
	.amdhsa_code_object_version 6
	.protected	fft_rtc_back_len289_factors_17_17_wgs_119_tpt_17_dp_op_CI_CI_sbrc_erc_z_xy_aligned ; -- Begin function fft_rtc_back_len289_factors_17_17_wgs_119_tpt_17_dp_op_CI_CI_sbrc_erc_z_xy_aligned
	.globl	fft_rtc_back_len289_factors_17_17_wgs_119_tpt_17_dp_op_CI_CI_sbrc_erc_z_xy_aligned
	.p2align	8
	.type	fft_rtc_back_len289_factors_17_17_wgs_119_tpt_17_dp_op_CI_CI_sbrc_erc_z_xy_aligned,@function
fft_rtc_back_len289_factors_17_17_wgs_119_tpt_17_dp_op_CI_CI_sbrc_erc_z_xy_aligned: ; @fft_rtc_back_len289_factors_17_17_wgs_119_tpt_17_dp_op_CI_CI_sbrc_erc_z_xy_aligned
; %bb.0:
	s_load_b256 s[4:11], s[0:1], 0x0
	v_mov_b32_e32 v62, v0
	s_mov_b32 s28, 0x2a9d6da3
	s_mov_b32 s29, 0xbfe58eea
	;; [unrolled: 1-line block ×18, first 2 shown]
	s_wait_kmcnt 0x0
	s_load_b128 s[12:15], s[8:9], 0x8
	s_mov_b32 s47, 0x3fedd6d0
	s_mov_b32 s43, 0x3fdc86fa
	;; [unrolled: 1-line block ×18, first 2 shown]
	v_mov_b32_e32 v41, 0
	s_wait_kmcnt 0x0
	s_add_co_i32 s2, s12, -1
	s_load_b64 s[22:23], s[0:1], 0x20
	s_mul_hi_u32 s3, s2, 0x24924925
	s_delay_alu instid0(SALU_CYCLE_1) | instskip(NEXT) | instid1(SALU_CYCLE_1)
	s_sub_co_i32 s2, s2, s3
	s_lshr_b32 s2, s2, 1
	s_delay_alu instid0(SALU_CYCLE_1) | instskip(NEXT) | instid1(SALU_CYCLE_1)
	s_add_co_i32 s2, s2, s3
	s_lshr_b32 s2, s2, 2
	s_delay_alu instid0(SALU_CYCLE_1) | instskip(NEXT) | instid1(SALU_CYCLE_1)
	s_add_co_i32 s3, s2, 1
	s_mul_i32 s8, s3, s14
	s_cvt_f32_u32 s12, s3
	s_cvt_f32_u32 s9, s8
	s_sub_co_i32 s13, 0, s8
	s_delay_alu instid0(SALU_CYCLE_2) | instskip(NEXT) | instid1(TRANS32_DEP_1)
	v_rcp_iflag_f32_e32 v0, s9
	v_readfirstlane_b32 s9, v0
	v_rcp_iflag_f32_e32 v0, s12
	s_delay_alu instid0(VALU_DEP_1) | instskip(SKIP_1) | instid1(SALU_CYCLE_2)
	s_mul_f32 s9, s9, 0x4f7ffffe
	s_wait_alu 0xfffe
	s_cvt_u32_f32 s9, s9
	s_wait_alu 0xfffe
	s_delay_alu instid0(SALU_CYCLE_2) | instskip(SKIP_2) | instid1(TRANS32_DEP_1)
	s_mul_i32 s13, s13, s9
	s_wait_alu 0xfffe
	s_mul_hi_u32 s12, s9, s13
	v_readfirstlane_b32 s13, v0
	s_wait_alu 0xfffe
	s_add_co_i32 s9, s9, s12
	s_wait_alu 0xfffe
	s_mul_hi_u32 s9, ttmp9, s9
	s_wait_alu 0xfffe
	s_mul_i32 s12, s9, s8
	s_add_co_i32 s14, s9, 1
	s_wait_alu 0xfffe
	s_sub_co_i32 s12, ttmp9, s12
	s_mul_f32 s13, s13, 0x4f7ffffe
	s_wait_alu 0xfffe
	s_sub_co_i32 s15, s12, s8
	s_cmp_ge_u32 s12, s8
	s_cselect_b32 s9, s14, s9
	s_cselect_b32 s12, s15, s12
	s_wait_alu 0xfffe
	s_add_co_i32 s14, s9, 1
	s_cmp_ge_u32 s12, s8
	s_cvt_u32_f32 s12, s13
	s_cselect_b32 s16, s14, s9
	s_not_b32 s2, s2
	s_mul_i32 s8, s16, s8
	s_wait_alu 0xfffe
	s_mul_i32 s2, s2, s12
	s_sub_co_i32 s8, ttmp9, s8
	s_mul_hi_u32 s2, s12, s2
	s_delay_alu instid0(SALU_CYCLE_1)
	s_add_co_i32 s2, s12, s2
	s_load_b128 s[12:15], s[10:11], 0x0
	s_mul_hi_u32 s9, s8, s2
	s_mul_hi_u32 s2, ttmp9, s2
	s_wait_kmcnt 0x0
	s_wait_alu 0xfffe
	s_mul_i32 s15, s9, s3
	s_mul_i32 s2, s2, s3
	s_sub_co_i32 s8, s8, s15
	s_add_co_i32 s15, s9, 1
	s_wait_alu 0xfffe
	s_sub_co_i32 s17, s8, s3
	s_cmp_ge_u32 s8, s3
	s_cselect_b32 s9, s15, s9
	s_cselect_b32 s8, s17, s8
	s_wait_alu 0xfffe
	s_add_co_i32 s15, s9, 1
	s_cmp_ge_u32 s8, s3
	s_cselect_b32 s19, s15, s9
	s_sub_co_i32 s2, ttmp9, s2
	s_load_b32 s15, s[10:11], 0x10
	s_sub_co_i32 s8, s2, s3
	s_cmp_ge_u32 s2, s3
	v_mad_co_u64_u32 v[1:2], null, s12, v62, 0
	s_wait_alu 0xfffe
	s_cselect_b32 s2, s8, s2
	s_delay_alu instid0(SALU_CYCLE_1)
	s_sub_co_i32 s8, s2, s3
	s_cmp_ge_u32 s2, s3
	s_wait_alu 0xfffe
	s_cselect_b32 s18, s8, s2
	s_lshl_b64 s[2:3], s[6:7], 3
	v_mov_b32_e32 v0, v2
	s_add_nc_u64 s[6:7], s[10:11], s[2:3]
	s_mul_i32 s18, s18, 7
	s_load_b64 s[20:21], s[6:7], 0x0
	s_load_b128 s[8:11], s[0:1], 0x58
	v_mad_co_u64_u32 v[2:3], null, s13, v62, v[0:1]
	s_mov_b32 s7, 0
	s_wait_kmcnt 0x0
	s_mul_i32 s6, s19, s15
	s_mov_b32 s17, s7
	s_mul_i32 s15, s18, s14
	v_add_nc_u16 v0, v62, 0xee
	s_add_co_i32 s6, s15, s6
	v_lshlrev_b64_e32 v[1:2], 4, v[1:2]
	s_delay_alu instid0(VALU_DEP_2)
	v_and_b32_e32 v7, 0xffff, v0
	v_add_nc_u16 v3, v62, 0x77
	v_add_nc_u16 v14, v62, 0x253
	;; [unrolled: 1-line block ×4, first 2 shown]
	v_mul_u32_u24_e32 v7, 0xe3, v7
	v_and_b32_e32 v28, 0xffff, v3
	s_mul_u64 s[0:1], s[20:21], s[16:17]
	s_lshl_b64 s[20:21], s[6:7], 4
	s_lshl_b64 s[0:1], s[0:1], 4
	v_lshrrev_b32_e32 v29, 16, v7
	s_add_nc_u64 s[0:1], s[8:9], s[0:1]
	v_mad_co_u64_u32 v[5:6], null, s12, v28, 0
	s_add_nc_u64 s[0:1], s[0:1], s[20:21]
	s_delay_alu instid0(VALU_DEP_2) | instskip(SKIP_2) | instid1(VALU_DEP_4)
	v_mul_lo_u32 v40, s14, v29
	v_add_co_u32 v1, vcc_lo, s0, v1
	v_add_co_ci_u32_e32 v2, vcc_lo, s1, v2, vcc_lo
	v_mad_co_u64_u32 v[6:7], null, s13, v28, v[6:7]
	v_mul_lo_u16 v7, 0x121, v29
	global_load_b128 v[1:4], v[1:2], off
	v_and_b32_e32 v16, 0xffff, v13
	v_add_nc_u16 v34, v62, 0x341
	v_add_nc_u16 v43, v62, 0x42f
	v_sub_nc_u16 v0, v0, v7
	v_lshlrev_b64_e32 v[5:6], 4, v[5:6]
	v_mul_u32_u24_e32 v16, 0xe3, v16
	v_and_b32_e32 v20, 0xffff, v34
	v_and_b32_e32 v44, 0xffff, v43
	;; [unrolled: 1-line block ×4, first 2 shown]
	v_add_co_u32 v5, vcc_lo, s0, v5
	s_wait_alu 0xfffd
	v_add_co_ci_u32_e32 v6, vcc_lo, s1, v6, vcc_lo
	v_mad_co_u64_u32 v[9:10], null, s12, v30, 0
	v_mul_u32_u24_e32 v17, 0xe3, v17
	global_load_b128 v[5:8], v[5:6], off
	v_lshrrev_b32_e32 v32, 16, v16
	v_and_b32_e32 v16, 0xffff, v19
	v_mul_u32_u24_e32 v24, 0xe3, v20
	v_lshrrev_b32_e32 v33, 16, v17
	v_mov_b32_e32 v0, v10
	v_mul_lo_u16 v17, 0x121, v32
	v_mul_u32_u24_e32 v44, 0x717, v44
	v_lshrrev_b32_e32 v39, 16, v24
	v_mul_lo_u16 v18, 0x121, v33
	s_add_nc_u64 s[8:9], s[22:23], s[2:3]
	v_sub_nc_u16 v13, v13, v17
	v_lshrrev_b32_e32 v44, 19, v44
	s_mov_b32 s20, 0x6c9a05f6
	v_sub_nc_u16 v14, v14, v18
	s_mov_b32 s21, 0xbfe9895b
	s_mov_b32 s62, s20
	s_delay_alu instid0(VALU_DEP_1) | instskip(NEXT) | instid1(VALU_DEP_1)
	v_and_b32_e32 v38, 0xffff, v14
	v_mad_co_u64_u32 v[17:18], null, s12, v38, 0
	v_and_b32_e32 v37, 0xffff, v13
	s_wait_loadcnt 0x1
	v_mad_co_u64_u32 v[10:11], null, s13, v30, v[0:1]
	v_lshlrev_b64_e32 v[11:12], 4, v[40:41]
	s_delay_alu instid0(VALU_DEP_2) | instskip(NEXT) | instid1(VALU_DEP_1)
	v_lshlrev_b64_e32 v[9:10], 4, v[9:10]
	v_add_co_u32 v0, vcc_lo, s0, v9
	s_wait_alu 0xfffd
	s_delay_alu instid0(VALU_DEP_2) | instskip(NEXT) | instid1(VALU_DEP_2)
	v_add_co_ci_u32_e32 v10, vcc_lo, s1, v10, vcc_lo
	v_add_co_u32 v9, vcc_lo, v0, v11
	s_wait_alu 0xfffd
	s_delay_alu instid0(VALU_DEP_2) | instskip(SKIP_3) | instid1(VALU_DEP_1)
	v_add_co_ci_u32_e32 v10, vcc_lo, v10, v12, vcc_lo
	v_add_nc_u16 v0, v62, 0x165
	global_load_b128 v[9:12], v[9:10], off
	v_and_b32_e32 v15, 0xffff, v0
	v_mul_u32_u24_e32 v15, 0xe3, v15
	s_delay_alu instid0(VALU_DEP_1) | instskip(NEXT) | instid1(VALU_DEP_1)
	v_lshrrev_b32_e32 v31, 16, v15
	v_mul_lo_u16 v15, 0x121, v31
	v_mul_lo_u32 v40, s14, v31
	s_delay_alu instid0(VALU_DEP_2) | instskip(SKIP_1) | instid1(VALU_DEP_1)
	v_sub_nc_u16 v0, v0, v15
	v_mul_u32_u24_e32 v15, 0xe3, v16
	v_lshrrev_b32_e32 v36, 16, v15
	v_mad_co_u64_u32 v[15:16], null, s12, v37, 0
	s_delay_alu instid0(VALU_DEP_4) | instskip(NEXT) | instid1(VALU_DEP_3)
	v_and_b32_e32 v35, 0xffff, v0
	v_mul_lo_u16 v21, 0x121, v36
	s_delay_alu instid0(VALU_DEP_2) | instskip(NEXT) | instid1(VALU_DEP_2)
	v_mad_co_u64_u32 v[13:14], null, s12, v35, 0
	v_sub_nc_u16 v25, v19, v21
	s_delay_alu instid0(VALU_DEP_1) | instskip(NEXT) | instid1(VALU_DEP_3)
	v_and_b32_e32 v42, 0xffff, v25
	v_mov_b32_e32 v0, v14
	v_mov_b32_e32 v14, v16
	;; [unrolled: 1-line block ×3, first 2 shown]
	s_delay_alu instid0(VALU_DEP_4) | instskip(NEXT) | instid1(VALU_DEP_4)
	v_mad_co_u64_u32 v[25:26], null, s12, v42, 0
	v_mad_co_u64_u32 v[18:19], null, s13, v35, v[0:1]
	s_delay_alu instid0(VALU_DEP_4)
	v_mad_co_u64_u32 v[21:22], null, s13, v37, v[14:15]
	v_lshlrev_b64_e32 v[19:20], 4, v[40:41]
	v_mul_lo_u32 v40, s14, v32
	v_mad_co_u64_u32 v[22:23], null, s13, v38, v[16:17]
	v_mov_b32_e32 v14, v18
	v_mov_b32_e32 v16, v21
	s_delay_alu instid0(VALU_DEP_2) | instskip(SKIP_2) | instid1(VALU_DEP_4)
	v_lshlrev_b64_e32 v[13:14], 4, v[13:14]
	v_lshlrev_b64_e32 v[23:24], 4, v[40:41]
	v_mul_lo_u32 v40, s14, v33
	v_lshlrev_b64_e32 v[15:16], 4, v[15:16]
	v_mov_b32_e32 v18, v22
	v_add_co_u32 v0, vcc_lo, s0, v13
	s_wait_alu 0xfffd
	v_add_co_ci_u32_e32 v14, vcc_lo, s1, v14, vcc_lo
	s_delay_alu instid0(VALU_DEP_3)
	v_lshlrev_b64_e32 v[17:18], 4, v[17:18]
	v_add_co_u32 v27, vcc_lo, s0, v15
	v_lshlrev_b64_e32 v[21:22], 4, v[40:41]
	s_wait_alu 0xfffd
	v_add_co_ci_u32_e32 v40, vcc_lo, s1, v16, vcc_lo
	v_add_co_u32 v13, vcc_lo, v0, v19
	v_mov_b32_e32 v0, v26
	s_wait_alu 0xfffd
	v_add_co_ci_u32_e32 v14, vcc_lo, v14, v20, vcc_lo
	v_add_co_u32 v19, vcc_lo, s0, v17
	s_wait_alu 0xfffd
	v_add_co_ci_u32_e32 v20, vcc_lo, s1, v18, vcc_lo
	v_add_co_u32 v17, vcc_lo, v27, v23
	v_mad_co_u64_u32 v[26:27], null, s13, v42, v[0:1]
	v_mul_lo_u16 v23, 0x121, v39
	s_wait_alu 0xfffd
	v_add_co_ci_u32_e32 v18, vcc_lo, v40, v24, vcc_lo
	v_mul_lo_u32 v40, s14, v36
	v_lshl_add_u32 v27, v62, 4, 0
	v_sub_nc_u16 v0, v34, v23
	v_lshlrev_b64_e32 v[25:26], 4, v[25:26]
	v_add_co_u32 v21, vcc_lo, v19, v21
	s_wait_alu 0xfffd
	v_add_co_ci_u32_e32 v22, vcc_lo, v20, v22, vcc_lo
	v_and_b32_e32 v34, 0xffff, v0
	ds_store_b128 v27, v[1:4]
	v_lshlrev_b64_e32 v[2:3], 4, v[40:41]
	v_add_co_u32 v4, vcc_lo, s0, v25
	v_mad_co_u64_u32 v[0:1], null, s12, v34, 0
	v_add_nc_u16 v27, v62, 0x3b8
	s_wait_alu 0xfffd
	v_add_co_ci_u32_e32 v25, vcc_lo, s1, v26, vcc_lo
	v_add_co_u32 v2, vcc_lo, v4, v2
	global_load_b128 v[13:16], v[13:14], off
	v_and_b32_e32 v4, 0xffff, v27
	s_wait_alu 0xfffd
	v_add_co_ci_u32_e32 v3, vcc_lo, v25, v3, vcc_lo
	v_mad_co_u64_u32 v[25:26], null, s13, v34, v[1:2]
	s_clause 0x1
	global_load_b128 v[17:20], v[17:18], off
	global_load_b128 v[21:24], v[21:22], off
	v_mul_u32_u24_e32 v45, 0x717, v4
	v_mul_lo_u32 v40, s14, v39
	v_mov_b32_e32 v1, v25
	v_lshl_add_u32 v28, v28, 4, 0
	s_delay_alu instid0(VALU_DEP_4) | instskip(NEXT) | instid1(VALU_DEP_3)
	v_lshrrev_b32_e32 v45, 19, v45
	v_lshlrev_b64_e32 v[25:26], 4, v[0:1]
	s_wait_loadcnt 0x4
	ds_store_b128 v28, v[5:8]
	v_mul_lo_u16 v8, 0x121, v45
	v_lshlrev_b64_e32 v[4:5], 4, v[40:41]
	global_load_b128 v[0:3], v[2:3], off
	v_mul_lo_u32 v40, s14, v45
	v_add_co_u32 v6, vcc_lo, s0, v25
	v_sub_nc_u16 v8, v27, v8
	s_wait_alu 0xfffd
	v_add_co_ci_u32_e32 v7, vcc_lo, s1, v26, vcc_lo
	v_mul_lo_u16 v25, 0x121, v44
	v_mul_u32_u24_e32 v26, 0x1220, v29
	v_lshlrev_b32_e32 v27, 4, v30
	v_and_b32_e32 v29, 0xffff, v8
	v_add_co_u32 v4, vcc_lo, v6, v4
	v_sub_nc_u16 v28, v43, v25
	s_delay_alu instid0(VALU_DEP_4) | instskip(NEXT) | instid1(VALU_DEP_4)
	v_add3_u32 v8, 0, v26, v27
	v_mad_co_u64_u32 v[25:26], null, s12, v29, 0
	s_wait_alu 0xfffd
	v_add_co_ci_u32_e32 v5, vcc_lo, v7, v5, vcc_lo
	v_and_b32_e32 v30, 0xffff, v28
	v_lshlrev_b32_e32 v27, 4, v35
	v_add_nc_u16 v35, v62, 0x6f9
	global_load_b128 v[4:7], v[4:5], off
	s_wait_loadcnt 0x5
	ds_store_b128 v8, v[9:12]
	v_mov_b32_e32 v8, v26
	s_delay_alu instid0(VALU_DEP_1) | instskip(SKIP_1) | instid1(VALU_DEP_2)
	v_mad_co_u64_u32 v[8:9], null, s13, v29, v[8:9]
	v_mad_co_u64_u32 v[9:10], null, s12, v30, 0
	v_mov_b32_e32 v26, v8
	s_delay_alu instid0(VALU_DEP_2) | instskip(NEXT) | instid1(VALU_DEP_1)
	v_mov_b32_e32 v8, v10
	v_mad_co_u64_u32 v[10:11], null, s13, v30, v[8:9]
	s_delay_alu instid0(VALU_DEP_3) | instskip(SKIP_2) | instid1(VALU_DEP_3)
	v_lshlrev_b64_e32 v[11:12], 4, v[25:26]
	v_lshlrev_b64_e32 v[25:26], 4, v[40:41]
	v_mul_lo_u32 v40, s14, v44
	v_add_co_u32 v11, vcc_lo, s0, v11
	s_wait_alu 0xfffd
	s_delay_alu instid0(VALU_DEP_4) | instskip(SKIP_1) | instid1(VALU_DEP_3)
	v_add_co_ci_u32_e32 v12, vcc_lo, s1, v12, vcc_lo
	v_lshlrev_b64_e32 v[8:9], 4, v[9:10]
	v_add_co_u32 v10, vcc_lo, v11, v25
	s_wait_alu 0xfffd
	s_delay_alu instid0(VALU_DEP_3) | instskip(SKIP_1) | instid1(VALU_DEP_4)
	v_add_co_ci_u32_e32 v11, vcc_lo, v12, v26, vcc_lo
	v_lshlrev_b64_e32 v[25:26], 4, v[40:41]
	v_add_co_u32 v8, vcc_lo, s0, v8
	s_wait_alu 0xfffd
	v_add_co_ci_u32_e32 v9, vcc_lo, s1, v9, vcc_lo
	v_mul_u32_u24_e32 v12, 0x1220, v31
	s_delay_alu instid0(VALU_DEP_3) | instskip(SKIP_1) | instid1(VALU_DEP_3)
	v_add_co_u32 v25, vcc_lo, v8, v25
	s_wait_alu 0xfffd
	v_add_co_ci_u32_e32 v26, vcc_lo, v9, v26, vcc_lo
	global_load_b128 v[8:11], v[10:11], off
	v_add3_u32 v12, 0, v12, v27
	v_mul_u32_u24_e32 v31, 0x1220, v32
	global_load_b128 v[25:28], v[25:26], off
	v_lshlrev_b32_e32 v32, 4, v37
	s_wait_loadcnt 0x6
	ds_store_b128 v12, v[13:16]
	v_add_nc_u16 v12, v62, 0x4a6
	v_add3_u32 v16, 0, v31, v32
	v_add_nc_u16 v13, v62, 0x51d
	v_add_nc_u16 v15, v62, 0x60b
	v_mul_u32_u24_e32 v32, 0x1220, v33
	v_lshlrev_b32_e32 v33, 4, v38
	s_wait_loadcnt 0x5
	ds_store_b128 v16, v[17:20]
	v_and_b32_e32 v17, 0xffff, v12
	v_add_nc_u16 v31, v62, 0x682
	v_and_b32_e32 v19, 0xffff, v13
	v_add3_u32 v18, 0, v32, v33
	v_and_b32_e32 v32, 0xffff, v15
	v_mul_u32_u24_e32 v17, 0x717, v17
	v_add_nc_u16 v14, v62, 0x594
	v_and_b32_e32 v33, 0xffff, v31
	s_wait_loadcnt 0x4
	ds_store_b128 v18, v[21:24]
	v_and_b32_e32 v18, 0xffff, v35
	v_mul_u32_u24_e32 v19, 0x717, v19
	v_mul_u32_u24_e32 v22, 0x717, v32
	v_lshrrev_b32_e32 v32, 19, v17
	v_and_b32_e32 v20, 0xffff, v14
	v_add_nc_u16 v16, v62, 0x770
	v_mul_u32_u24_e32 v23, 0x717, v33
	v_mul_u32_u24_e32 v18, 0x717, v18
	v_lshrrev_b32_e32 v33, 19, v19
	v_mul_lo_u16 v17, 0x121, v32
	v_mul_u32_u24_e32 v20, 0x717, v20
	v_and_b32_e32 v21, 0xffff, v16
	v_lshrrev_b32_e32 v43, 19, v23
	v_lshrrev_b32_e32 v46, 19, v18
	v_mul_lo_u16 v18, 0x121, v33
	v_sub_nc_u16 v12, v12, v17
	v_lshrrev_b32_e32 v37, 19, v20
	v_mul_u32_u24_e32 v21, 0x717, v21
	v_mul_u32_u24_e32 v19, 0x1220, v36
	v_sub_nc_u16 v18, v13, v18
	v_mul_lo_u16 v13, 0x121, v43
	v_and_b32_e32 v36, 0xffff, v12
	v_lshrrev_b32_e32 v38, 19, v22
	v_mul_lo_u16 v20, 0x121, v37
	v_lshrrev_b32_e32 v47, 19, v21
	v_sub_nc_u16 v21, v31, v13
	v_mad_co_u64_u32 v[12:13], null, s12, v36, 0
	v_mul_lo_u16 v17, 0x121, v38
	v_sub_nc_u16 v14, v14, v20
	v_lshlrev_b32_e32 v23, 4, v42
	v_mul_u32_u24_e32 v22, 0x1220, v39
	v_mul_lo_u16 v20, 0x121, v46
	v_sub_nc_u16 v15, v15, v17
	v_mul_lo_u16 v17, 0x121, v47
	v_and_b32_e32 v39, 0xffff, v14
	v_mad_co_u64_u32 v[13:14], null, s13, v36, v[13:14]
	v_lshlrev_b32_e32 v14, 4, v34
	s_delay_alu instid0(VALU_DEP_4)
	v_sub_nc_u16 v31, v16, v17
	v_add3_u32 v16, 0, v19, v23
	v_mul_lo_u32 v40, s14, v32
	v_sub_nc_u16 v20, v35, v20
	v_and_b32_e32 v35, 0xffff, v18
	v_lshlrev_b64_e32 v[12:13], 4, v[12:13]
	s_wait_loadcnt 0x3
	ds_store_b128 v16, v[0:3]
	v_add3_u32 v16, 0, v22, v14
	v_and_b32_e32 v42, 0xffff, v15
	v_mad_co_u64_u32 v[0:1], null, s12, v35, 0
	v_mad_co_u64_u32 v[2:3], null, s12, v39, 0
	s_wait_loadcnt 0x2
	ds_store_b128 v16, v[4:7]
	v_lshlrev_b64_e32 v[4:5], 4, v[40:41]
	v_add_co_u32 v12, vcc_lo, s0, v12
	v_mad_co_u64_u32 v[14:15], null, s12, v42, 0
	v_mul_u32_u24_e32 v24, 0x1220, v45
	v_and_b32_e32 v45, 0xffff, v21
	s_wait_alu 0xfffd
	v_add_co_ci_u32_e32 v13, vcc_lo, s1, v13, vcc_lo
	v_add_co_u32 v4, vcc_lo, v12, v4
	v_mad_co_u64_u32 v[6:7], null, s13, v35, v[1:2]
	s_wait_alu 0xfffd
	s_delay_alu instid0(VALU_DEP_3)
	v_add_co_ci_u32_e32 v5, vcc_lo, v13, v5, vcc_lo
	v_mad_co_u64_u32 v[12:13], null, s12, v45, 0
	v_and_b32_e32 v48, 0xffff, v20
	v_lshlrev_b32_e32 v18, 4, v29
	v_mad_co_u64_u32 v[16:17], null, s13, v39, v[3:4]
	v_mov_b32_e32 v3, v15
	v_mov_b32_e32 v1, v6
	s_delay_alu instid0(VALU_DEP_4) | instskip(SKIP_1) | instid1(VALU_DEP_4)
	v_add3_u32 v29, 0, v24, v18
	v_mad_co_u64_u32 v[6:7], null, s12, v48, 0
	v_mad_co_u64_u32 v[17:18], null, s13, v42, v[3:4]
	;; [unrolled: 1-line block ×3, first 2 shown]
	v_mov_b32_e32 v3, v16
	v_and_b32_e32 v31, 0xffff, v31
	v_lshlrev_b64_e32 v[21:22], 4, v[0:1]
	v_mul_lo_u32 v40, s14, v33
	v_mov_b32_e32 v15, v17
	v_lshlrev_b64_e32 v[23:24], 4, v[2:3]
	global_load_b128 v[0:3], v[4:5], off
	v_mov_b32_e32 v13, v18
	v_mul_u32_u24_e32 v34, 0x1220, v44
	v_lshlrev_b64_e32 v[14:15], 4, v[14:15]
	s_delay_alu instid0(VALU_DEP_3)
	v_lshlrev_b64_e32 v[4:5], 4, v[12:13]
	s_wait_loadcnt 0x2
	v_mad_co_u64_u32 v[16:17], null, s13, v48, v[7:8]
	v_mad_co_u64_u32 v[17:18], null, s12, v31, 0
	ds_store_b128 v29, v[8:11]
	v_add_co_u32 v10, vcc_lo, s0, v21
	s_wait_alu 0xfffd
	v_add_co_ci_u32_e32 v11, vcc_lo, s1, v22, vcc_lo
	v_dual_mov_b32 v7, v16 :: v_dual_mov_b32 v16, v18
	s_delay_alu instid0(VALU_DEP_1) | instskip(NEXT) | instid1(VALU_DEP_2)
	v_lshlrev_b64_e32 v[6:7], 4, v[6:7]
	v_mad_co_u64_u32 v[18:19], null, s13, v31, v[16:17]
	v_lshlrev_b64_e32 v[19:20], 4, v[40:41]
	v_mul_lo_u32 v40, s14, v37
	s_mov_b32 s12, 0xacd6c6b4
	s_mov_b32 s13, 0xbfc7851a
	s_wait_alu 0xfffe
	s_mov_b32 s60, s12
	v_add_co_u32 v10, vcc_lo, v10, v19
	s_wait_alu 0xfffd
	v_add_co_ci_u32_e32 v11, vcc_lo, v11, v20, vcc_lo
	v_lshlrev_b64_e32 v[8:9], 4, v[40:41]
	v_mul_lo_u32 v40, s14, v38
	v_add_co_u32 v16, vcc_lo, s0, v23
	s_wait_alu 0xfffd
	v_add_co_ci_u32_e32 v19, vcc_lo, s1, v24, vcc_lo
	s_delay_alu instid0(VALU_DEP_2) | instskip(NEXT) | instid1(VALU_DEP_4)
	v_add_co_u32 v8, vcc_lo, v16, v8
	v_lshlrev_b64_e32 v[12:13], 4, v[40:41]
	v_mul_lo_u32 v40, s14, v43
	s_wait_alu 0xfffd
	v_add_co_ci_u32_e32 v9, vcc_lo, v19, v9, vcc_lo
	v_add_co_u32 v16, vcc_lo, s0, v14
	s_wait_alu 0xfffd
	v_add_co_ci_u32_e32 v21, vcc_lo, s1, v15, vcc_lo
	v_lshlrev_b64_e32 v[14:15], 4, v[17:18]
	v_lshlrev_b64_e32 v[19:20], 4, v[40:41]
	v_mul_lo_u32 v40, s14, v46
	v_add_co_u32 v12, vcc_lo, v16, v12
	s_wait_alu 0xfffd
	v_add_co_ci_u32_e32 v13, vcc_lo, v21, v13, vcc_lo
	v_add_co_u32 v4, vcc_lo, s0, v4
	s_wait_alu 0xfffd
	v_add_co_ci_u32_e32 v5, vcc_lo, s1, v5, vcc_lo
	v_lshlrev_b64_e32 v[16:17], 4, v[40:41]
	v_mul_lo_u32 v40, s14, v47
	v_add_co_u32 v21, vcc_lo, s0, v6
	s_wait_alu 0xfffd
	v_add_co_ci_u32_e32 v22, vcc_lo, s1, v7, vcc_lo
	v_add_co_u32 v18, vcc_lo, v4, v19
	s_wait_alu 0xfffd
	v_add_co_ci_u32_e32 v19, vcc_lo, v5, v20, vcc_lo
	global_load_b128 v[4:7], v[10:11], off
	v_add_co_u32 v20, vcc_lo, v21, v16
	s_wait_alu 0xfffd
	v_add_co_ci_u32_e32 v21, vcc_lo, v22, v17, vcc_lo
	v_lshlrev_b64_e32 v[10:11], 4, v[40:41]
	v_add_co_u32 v14, vcc_lo, s0, v14
	s_wait_alu 0xfffd
	v_add_co_ci_u32_e32 v15, vcc_lo, s1, v15, vcc_lo
	v_lshlrev_b32_e32 v16, 4, v30
	s_delay_alu instid0(VALU_DEP_3) | instskip(SKIP_1) | instid1(VALU_DEP_3)
	v_add_co_u32 v29, vcc_lo, v14, v10
	s_wait_alu 0xfffd
	v_add_co_ci_u32_e32 v30, vcc_lo, v15, v11, vcc_lo
	s_clause 0x1
	global_load_b128 v[8:11], v[8:9], off
	global_load_b128 v[12:15], v[12:13], off
	v_add3_u32 v16, 0, v34, v16
	v_mul_u32_u24_e32 v17, 0x1220, v32
	v_lshlrev_b32_e32 v22, 4, v36
	s_mov_b32 s14, 0x4363dd80
	s_mov_b32 s15, 0xbfe0d888
	s_wait_loadcnt 0x4
	ds_store_b128 v16, v[25:28]
	s_wait_alu 0xfffe
	s_mov_b32 s56, s14
	v_add3_u32 v28, 0, v17, v22
	s_clause 0x2
	global_load_b128 v[16:19], v[18:19], off
	global_load_b128 v[20:23], v[20:21], off
	;; [unrolled: 1-line block ×3, first 2 shown]
	s_clause 0x1
	s_load_b128 s[0:3], s[22:23], 0x0
	s_load_b64 s[8:9], s[8:9], 0x0
	s_wait_kmcnt 0x0
	s_load_b32 s3, s[22:23], 0x10
	s_mov_b32 s22, 0x923c349f
	s_mov_b32 s23, 0xbfeec746
	;; [unrolled: 1-line block ×3, first 2 shown]
	s_mul_i32 s6, s19, s2
	s_mov_b32 s19, s7
	s_mul_u64 s[8:9], s[8:9], s[16:17]
	s_wait_loadcnt 0x6
	ds_store_b128 v28, v[0:3]
	v_mul_u32_u24_e32 v0, 0xf10, v62
	v_lshlrev_b32_e32 v28, 4, v35
	s_delay_alu instid0(VALU_DEP_2) | instskip(NEXT) | instid1(VALU_DEP_1)
	v_lshrrev_b32_e32 v0, 16, v0
	v_add_nc_u32_e32 v1, s18, v0
	v_mul_lo_u16 v0, v0, 17
	s_delay_alu instid0(VALU_DEP_2) | instskip(NEXT) | instid1(VALU_DEP_2)
	v_mul_hi_u32 v2, 0x24924925, v1
	v_sub_nc_u16 v0, v62, v0
	s_delay_alu instid0(VALU_DEP_1) | instskip(NEXT) | instid1(VALU_DEP_3)
	v_and_b32_e32 v0, 0xffff, v0
	v_sub_nc_u32_e32 v3, v1, v2
	s_delay_alu instid0(VALU_DEP_1) | instskip(NEXT) | instid1(VALU_DEP_1)
	v_lshrrev_b32_e32 v3, 1, v3
	v_add_nc_u32_e32 v2, v3, v2
	v_mul_u32_u24_e32 v3, 0x1220, v33
	s_delay_alu instid0(VALU_DEP_2) | instskip(NEXT) | instid1(VALU_DEP_2)
	v_lshrrev_b32_e32 v2, 2, v2
	v_add3_u32 v3, 0, v3, v28
	s_delay_alu instid0(VALU_DEP_2) | instskip(NEXT) | instid1(VALU_DEP_1)
	v_mul_lo_u32 v2, v2, 7
	v_sub_nc_u32_e32 v1, v1, v2
	s_delay_alu instid0(VALU_DEP_1) | instskip(NEXT) | instid1(VALU_DEP_1)
	v_mul_u32_u24_e32 v1, 0x122, v1
	v_lshlrev_b32_e32 v1, 4, v1
	s_wait_loadcnt 0x5
	ds_store_b128 v3, v[4:7]
	v_mul_u32_u24_e32 v3, 0x1220, v37
	v_lshlrev_b32_e32 v4, 4, v39
	v_mul_u32_u24_e32 v5, 0x1220, v38
	v_lshlrev_b32_e32 v6, 4, v42
	v_lshlrev_b32_e32 v7, 4, v31
	s_delay_alu instid0(VALU_DEP_4) | instskip(SKIP_1) | instid1(VALU_DEP_4)
	v_add3_u32 v2, 0, v3, v4
	v_mul_u32_u24_e32 v4, 0x1220, v46
	v_add3_u32 v3, 0, v5, v6
	v_lshlrev_b32_e32 v5, 4, v48
	v_mul_u32_u24_e32 v6, 0x1220, v47
	s_wait_loadcnt 0x4
	ds_store_b128 v2, v[8:11]
	s_wait_loadcnt 0x3
	ds_store_b128 v3, v[12:15]
	v_mul_u32_u24_e32 v2, 0x1220, v43
	v_lshlrev_b32_e32 v3, 4, v45
	s_delay_alu instid0(VALU_DEP_1)
	v_add3_u32 v2, 0, v2, v3
	v_add3_u32 v3, 0, v4, v5
	;; [unrolled: 1-line block ×3, first 2 shown]
	v_add_nc_u32_e32 v6, 0, v1
	v_lshlrev_b32_e32 v5, 4, v0
	scratch_store_b32 off, v6, off offset:8 ; 4-byte Folded Spill
	s_wait_loadcnt 0x2
	ds_store_b128 v2, v[16:19]
	s_wait_loadcnt 0x1
	ds_store_b128 v3, v[20:23]
	;; [unrolled: 2-line block ×3, first 2 shown]
	v_add_nc_u32_e32 v2, v6, v5
	v_add3_u32 v63, 0, v5, v1
	global_wb scope:SCOPE_SE
	s_wait_storecnt_dscnt 0x0
	scratch_store_b32 off, v2, off          ; 4-byte Folded Spill
	s_wait_storecnt 0x0
	s_wait_kmcnt 0x0
	s_barrier_signal -1
	s_barrier_wait -1
	global_inv scope:SCOPE_SE
	ds_load_b128 v[1:4], v2
	ds_load_b128 v[5:8], v63 offset:272
	ds_load_b128 v[9:12], v63 offset:544
	;; [unrolled: 1-line block ×3, first 2 shown]
	s_wait_dscnt 0x2
	v_add_f64_e32 v[19:20], v[3:4], v[7:8]
	v_add_f64_e32 v[17:18], v[1:2], v[5:6]
	s_wait_dscnt 0x1
	s_delay_alu instid0(VALU_DEP_2) | instskip(NEXT) | instid1(VALU_DEP_2)
	v_add_f64_e32 v[19:20], v[19:20], v[11:12]
	v_add_f64_e32 v[17:18], v[17:18], v[9:10]
	s_wait_dscnt 0x0
	s_delay_alu instid0(VALU_DEP_2) | instskip(NEXT) | instid1(VALU_DEP_2)
	v_add_f64_e32 v[27:28], v[19:20], v[15:16]
	v_add_f64_e32 v[25:26], v[17:18], v[13:14]
	ds_load_b128 v[17:20], v63 offset:1088
	ds_load_b128 v[21:24], v63 offset:1360
	s_wait_dscnt 0x1
	v_add_f64_e32 v[27:28], v[27:28], v[19:20]
	v_add_f64_e32 v[25:26], v[25:26], v[17:18]
	s_wait_dscnt 0x0
	s_delay_alu instid0(VALU_DEP_2) | instskip(NEXT) | instid1(VALU_DEP_2)
	v_add_f64_e32 v[35:36], v[27:28], v[23:24]
	v_add_f64_e32 v[33:34], v[25:26], v[21:22]
	ds_load_b128 v[25:28], v63 offset:1632
	ds_load_b128 v[29:32], v63 offset:1904
	s_wait_dscnt 0x1
	;; [unrolled: 9-line block ×3, first 2 shown]
	v_add_f64_e32 v[94:95], v[35:36], v[39:40]
	v_add_f64_e64 v[96:97], v[35:36], -v[39:40]
	v_add_f64_e32 v[46:47], v[46:47], v[35:36]
	v_add_f64_e32 v[44:45], v[42:43], v[33:34]
	;; [unrolled: 1-line block ×3, first 2 shown]
	v_add_f64_e64 v[33:34], v[33:34], -v[37:38]
	v_mul_f64_e32 v[144:145], s[46:47], v[94:95]
	v_mul_f64_e32 v[142:143], s[50:51], v[96:97]
	;; [unrolled: 1-line block ×6, first 2 shown]
	v_add_f64_e32 v[50:51], v[46:47], v[39:40]
	v_add_f64_e32 v[48:49], v[44:45], v[37:38]
	ds_load_b128 v[37:40], v63 offset:2720
	ds_load_b128 v[44:47], v63 offset:2992
	s_wait_dscnt 0x1
	v_add_f64_e32 v[102:103], v[31:32], v[39:40]
	v_add_f64_e64 v[104:105], v[31:32], -v[39:40]
	s_wait_dscnt 0x0
	v_add_f64_e32 v[106:107], v[27:28], v[46:47]
	v_add_f64_e64 v[108:109], v[27:28], -v[46:47]
	v_add_f64_e32 v[35:36], v[29:30], v[37:38]
	v_add_f64_e64 v[29:30], v[29:30], -v[37:38]
	v_add_f64_e32 v[31:32], v[25:26], v[44:45]
	v_add_f64_e32 v[39:40], v[50:51], v[39:40]
	;; [unrolled: 1-line block ×3, first 2 shown]
	v_add_f64_e64 v[37:38], v[25:26], -v[44:45]
	ds_load_b128 v[25:28], v63 offset:3264
	ds_load_b128 v[50:53], v63 offset:3536
	v_mul_f64_e32 v[136:137], s[42:43], v[102:103]
	s_wait_dscnt 0x1
	v_add_f64_e32 v[118:119], v[23:24], v[27:28]
	v_add_f64_e64 v[128:129], v[23:24], -v[27:28]
	s_wait_dscnt 0x0
	v_add_f64_e32 v[138:139], v[19:20], v[52:53]
	v_add_f64_e64 v[140:141], v[19:20], -v[52:53]
	v_mul_f64_e32 v[130:131], s[54:55], v[108:109]
	v_mul_f64_e32 v[132:133], s[38:39], v[106:107]
	;; [unrolled: 1-line block ×11, first 2 shown]
	v_add_f64_e32 v[46:47], v[39:40], v[46:47]
	v_add_f64_e32 v[48:49], v[48:49], v[44:45]
	;; [unrolled: 1-line block ×3, first 2 shown]
	v_add_f64_e64 v[44:45], v[21:22], -v[25:26]
	v_mul_f64_e32 v[126:127], s[34:35], v[118:119]
	v_mul_f64_e32 v[124:125], s[56:57], v[128:129]
	;; [unrolled: 1-line block ×10, first 2 shown]
	v_add_f64_e32 v[23:24], v[46:47], v[27:28]
	v_add_f64_e32 v[21:22], v[48:49], v[25:26]
	;; [unrolled: 1-line block ×3, first 2 shown]
	v_add_f64_e64 v[48:49], v[17:18], -v[50:51]
	s_delay_alu instid0(VALU_DEP_4) | instskip(NEXT) | instid1(VALU_DEP_4)
	v_add_f64_e32 v[27:28], v[23:24], v[52:53]
	v_add_f64_e32 v[25:26], v[21:22], v[50:51]
	ds_load_b128 v[17:20], v63 offset:3808
	ds_load_b128 v[21:24], v63 offset:4080
	s_wait_dscnt 0x1
	v_add_f64_e32 v[146:147], v[15:16], v[19:20]
	v_add_f64_e64 v[150:151], v[15:16], -v[19:20]
	s_wait_dscnt 0x0
	v_add_f64_e32 v[54:55], v[9:10], v[21:22]
	v_add_f64_e32 v[152:153], v[11:12], v[23:24]
	v_add_f64_e64 v[56:57], v[9:10], -v[21:22]
	v_add_f64_e64 v[154:155], v[11:12], -v[23:24]
	ds_load_b128 v[9:12], v63 offset:4352
	v_add_f64_e32 v[50:51], v[13:14], v[17:18]
	v_add_f64_e64 v[52:53], v[13:14], -v[17:18]
	v_add_f64_e32 v[15:16], v[27:28], v[19:20]
	v_add_f64_e32 v[13:14], v[25:26], v[17:18]
	s_wait_dscnt 0x0
	v_add_f64_e64 v[17:18], v[7:8], -v[11:12]
	v_add_f64_e32 v[19:20], v[5:6], v[9:10]
	v_mul_f64_e32 v[166:167], s[30:31], v[146:147]
	v_mul_f64_e32 v[228:229], s[54:55], v[150:151]
	;; [unrolled: 1-line block ×6, first 2 shown]
	v_add_f64_e32 v[15:16], v[15:16], v[23:24]
	v_add_f64_e32 v[13:14], v[13:14], v[21:22]
	;; [unrolled: 1-line block ×3, first 2 shown]
	v_add_f64_e64 v[23:24], v[5:6], -v[9:10]
	v_mul_f64_e32 v[58:59], s[14:15], v[17:18]
	v_mul_f64_e32 v[25:26], s[22:23], v[17:18]
	;; [unrolled: 1-line block ×3, first 2 shown]
	v_add_f64_e32 v[7:8], v[15:16], v[11:12]
	v_mul_f64_e32 v[11:12], s[28:29], v[17:18]
	v_add_f64_e32 v[5:6], v[13:14], v[9:10]
	v_mul_f64_e32 v[9:10], s[48:49], v[17:18]
	v_mul_f64_e32 v[13:14], s[26:27], v[17:18]
	;; [unrolled: 1-line block ×6, first 2 shown]
	v_fma_f64 v[76:77], v[19:20], s[34:35], v[58:59]
	v_fma_f64 v[78:79], v[19:20], s[34:35], -v[58:59]
	v_mul_f64_e32 v[58:59], s[44:45], v[21:22]
	v_fma_f64 v[72:73], v[19:20], s[38:39], v[25:26]
	v_fma_f64 v[25:26], v[19:20], s[38:39], -v[25:26]
	v_fma_f64 v[74:75], v[19:20], s[36:37], v[27:28]
	v_fma_f64 v[27:28], v[19:20], s[36:37], -v[27:28]
	v_mul_f64_e32 v[84:85], s[38:39], v[21:22]
	v_mul_f64_e32 v[86:87], s[36:37], v[21:22]
	;; [unrolled: 1-line block ×3, first 2 shown]
	v_fma_f64 v[64:65], v[19:20], s[44:45], v[11:12]
	v_fma_f64 v[11:12], v[19:20], s[44:45], -v[11:12]
	v_fma_f64 v[60:61], v[19:20], s[46:47], v[9:10]
	v_fma_f64 v[9:10], v[19:20], s[46:47], -v[9:10]
	;; [unrolled: 2-line block ×5, first 2 shown]
	v_mul_f64_e32 v[19:20], s[46:47], v[21:22]
	v_fma_f64 v[98:99], v[23:24], s[28:29], v[58:59]
	v_fma_f64 v[110:111], v[23:24], s[26:27], v[66:67]
	v_mul_f64_e32 v[21:22], s[30:31], v[21:22]
	v_fma_f64 v[112:113], v[23:24], s[64:65], v[82:83]
	v_fma_f64 v[82:83], v[23:24], s[24:25], v[82:83]
	;; [unrolled: 1-line block ×10, first 2 shown]
	v_add_f64_e32 v[194:195], v[1:2], v[72:73]
	v_add_f64_e32 v[25:26], v[1:2], v[25:26]
	v_add_f64_e32 v[200:201], v[1:2], v[74:75]
	v_add_f64_e32 v[204:205], v[1:2], v[27:28]
	v_add_f64_e32 v[208:209], v[1:2], v[76:77]
	v_add_f64_e32 v[212:213], v[1:2], v[78:79]
	v_mul_f64_e32 v[72:73], s[42:43], v[146:147]
	v_mul_f64_e32 v[74:75], s[24:25], v[140:141]
	;; [unrolled: 1-line block ×5, first 2 shown]
	v_add_f64_e32 v[11:12], v[1:2], v[11:12]
	v_add_f64_e32 v[9:10], v[1:2], v[9:10]
	;; [unrolled: 1-line block ×3, first 2 shown]
	v_mul_f64_e32 v[68:69], s[44:45], v[152:153]
	v_add_f64_e32 v[190:191], v[1:2], v[70:71]
	v_add_f64_e32 v[158:159], v[1:2], v[15:16]
	v_add_f64_e32 v[216:217], v[1:2], v[80:81]
	v_add_f64_e32 v[220:221], v[1:2], v[17:18]
	v_fma_f64 v[90:91], v[23:24], s[50:51], v[19:20]
	v_fma_f64 v[19:20], v[23:24], s[48:49], v[19:20]
	v_mul_f64_e32 v[70:71], s[26:27], v[150:151]
	v_fma_f64 v[122:123], v[23:24], s[60:61], v[21:22]
	v_fma_f64 v[21:22], v[23:24], s[12:13], v[21:22]
	v_add_f64_e32 v[23:24], v[1:2], v[60:61]
	v_add_f64_e32 v[192:193], v[3:4], v[112:113]
	;; [unrolled: 1-line block ×9, first 2 shown]
	v_mul_f64_e32 v[80:81], s[38:39], v[118:119]
	v_mul_f64_e32 v[84:85], s[36:37], v[106:107]
	;; [unrolled: 1-line block ×8, first 2 shown]
	scratch_store_b64 off, v[11:12], off offset:40 ; 8-byte Folded Spill
	v_add_f64_e32 v[11:12], v[3:4], v[98:99]
	scratch_store_b64 off, v[9:10], off offset:16 ; 8-byte Folded Spill
	v_add_f64_e32 v[90:91], v[3:4], v[90:91]
	v_add_f64_e32 v[9:10], v[3:4], v[19:20]
	;; [unrolled: 1-line block ×5, first 2 shown]
	v_mul_f64_e32 v[92:93], s[30:31], v[94:95]
	v_mul_f64_e32 v[122:123], s[30:31], v[138:139]
	v_fma_f64 v[21:22], v[50:51], s[38:39], v[228:229]
	scratch_store_b64 off, v[11:12], off offset:32 ; 8-byte Folded Spill
	v_add_f64_e32 v[11:12], v[1:2], v[13:14]
	v_fma_f64 v[13:14], v[50:51], s[36:37], v[114:115]
	scratch_store_b64 off, v[11:12], off offset:56 ; 8-byte Folded Spill
	v_add_f64_e32 v[11:12], v[3:4], v[110:111]
	scratch_store_b64 off, v[9:10], off offset:24 ; 8-byte Folded Spill
	v_add_f64_e32 v[9:10], v[1:2], v[64:65]
	v_mul_f64_e32 v[64:65], s[28:29], v[154:155]
	v_mul_f64_e32 v[110:111], s[24:25], v[154:155]
	scratch_store_b64 off, v[11:12], off offset:48 ; 8-byte Folded Spill
	v_add_f64_e32 v[11:12], v[3:4], v[82:83]
	v_fma_f64 v[3:4], v[56:57], s[58:59], v[68:69]
	v_fma_f64 v[1:2], v[54:55], s[44:45], v[64:65]
	v_mul_f64_e32 v[82:83], s[20:21], v[108:109]
	scratch_store_b64 off, v[11:12], off offset:64 ; 8-byte Folded Spill
	v_fma_f64 v[11:12], v[50:51], s[42:43], v[70:71]
	v_add_f64_e32 v[1:2], v[1:2], v[23:24]
	v_add_f64_e32 v[3:4], v[3:4], v[90:91]
	v_mul_f64_e32 v[90:91], s[12:13], v[96:97]
	s_delay_alu instid0(VALU_DEP_3) | instskip(SKIP_1) | instid1(VALU_DEP_1)
	v_add_f64_e32 v[1:2], v[11:12], v[1:2]
	v_fma_f64 v[11:12], v[52:53], s[52:53], v[72:73]
	v_add_f64_e32 v[3:4], v[11:12], v[3:4]
	v_fma_f64 v[11:12], v[46:47], s[40:41], v[74:75]
	s_delay_alu instid0(VALU_DEP_1) | instskip(SKIP_1) | instid1(VALU_DEP_1)
	v_add_f64_e32 v[1:2], v[11:12], v[1:2]
	v_fma_f64 v[11:12], v[48:49], s[64:65], v[76:77]
	v_add_f64_e32 v[3:4], v[11:12], v[3:4]
	v_fma_f64 v[11:12], v[39:40], s[38:39], v[78:79]
	s_delay_alu instid0(VALU_DEP_1) | instskip(SKIP_1) | instid1(VALU_DEP_1)
	;; [unrolled: 5-line block ×5, first 2 shown]
	v_add_f64_e32 v[1:2], v[11:12], v[1:2]
	v_fma_f64 v[11:12], v[33:34], s[60:61], v[92:93]
	v_add_f64_e32 v[3:4], v[11:12], v[3:4]
	v_fma_f64 v[11:12], v[54:55], s[40:41], v[110:111]
	s_delay_alu instid0(VALU_DEP_1) | instskip(SKIP_1) | instid1(VALU_DEP_2)
	v_add_f64_e32 v[9:10], v[11:12], v[9:10]
	v_fma_f64 v[11:12], v[56:57], s[64:65], v[112:113]
	v_add_f64_e32 v[9:10], v[13:14], v[9:10]
	s_delay_alu instid0(VALU_DEP_2) | instskip(SKIP_2) | instid1(VALU_DEP_2)
	v_add_f64_e32 v[11:12], v[11:12], v[19:20]
	v_fma_f64 v[13:14], v[52:53], s[62:63], v[116:117]
	v_fma_f64 v[19:20], v[56:57], s[60:61], v[226:227]
	v_add_f64_e32 v[11:12], v[13:14], v[11:12]
	v_fma_f64 v[13:14], v[46:47], s[30:31], v[120:121]
	s_delay_alu instid0(VALU_DEP_3) | instskip(SKIP_1) | instid1(VALU_DEP_3)
	v_add_f64_e32 v[19:20], v[19:20], v[192:193]
	v_mul_f64_e32 v[192:193], s[58:59], v[150:151]
	v_add_f64_e32 v[9:10], v[13:14], v[9:10]
	v_fma_f64 v[13:14], v[48:49], s[60:61], v[122:123]
	s_delay_alu instid0(VALU_DEP_1) | instskip(SKIP_1) | instid1(VALU_DEP_1)
	v_add_f64_e32 v[11:12], v[13:14], v[11:12]
	v_fma_f64 v[13:14], v[39:40], s[34:35], v[124:125]
	v_add_f64_e32 v[9:10], v[13:14], v[9:10]
	v_fma_f64 v[13:14], v[44:45], s[14:15], v[126:127]
	s_delay_alu instid0(VALU_DEP_1) | instskip(SKIP_1) | instid1(VALU_DEP_1)
	v_add_f64_e32 v[11:12], v[13:14], v[11:12]
	v_fma_f64 v[13:14], v[31:32], s[38:39], v[130:131]
	;; [unrolled: 5-line block ×5, first 2 shown]
	v_add_f64_e32 v[13:14], v[13:14], v[162:163]
	v_mul_f64_e32 v[162:163], s[36:37], v[152:153]
	s_delay_alu instid0(VALU_DEP_1) | instskip(NEXT) | instid1(VALU_DEP_1)
	v_fma_f64 v[15:16], v[56:57], s[62:63], v[162:163]
	v_add_f64_e32 v[15:16], v[15:16], v[164:165]
	v_mul_f64_e32 v[164:165], s[60:61], v[150:151]
	s_delay_alu instid0(VALU_DEP_1) | instskip(NEXT) | instid1(VALU_DEP_1)
	v_fma_f64 v[17:18], v[50:51], s[30:31], v[164:165]
	v_add_f64_e32 v[13:14], v[17:18], v[13:14]
	v_fma_f64 v[17:18], v[52:53], s[12:13], v[166:167]
	s_delay_alu instid0(VALU_DEP_1) | instskip(SKIP_1) | instid1(VALU_DEP_1)
	v_add_f64_e32 v[15:16], v[17:18], v[15:16]
	v_fma_f64 v[17:18], v[46:47], s[38:39], v[168:169]
	v_add_f64_e32 v[13:14], v[17:18], v[13:14]
	v_fma_f64 v[17:18], v[48:49], s[22:23], v[170:171]
	s_delay_alu instid0(VALU_DEP_1) | instskip(SKIP_1) | instid1(VALU_DEP_1)
	v_add_f64_e32 v[15:16], v[17:18], v[15:16]
	;; [unrolled: 5-line block ×6, first 2 shown]
	v_fma_f64 v[17:18], v[54:55], s[30:31], v[224:225]
	v_add_f64_e32 v[17:18], v[17:18], v[190:191]
	v_mul_f64_e32 v[190:191], s[34:35], v[152:153]
	s_delay_alu instid0(VALU_DEP_2) | instskip(SKIP_1) | instid1(VALU_DEP_3)
	v_add_f64_e32 v[17:18], v[21:22], v[17:18]
	v_fma_f64 v[21:22], v[52:53], s[22:23], v[230:231]
	v_fma_f64 v[23:24], v[56:57], s[14:15], v[190:191]
	s_delay_alu instid0(VALU_DEP_2) | instskip(SKIP_1) | instid1(VALU_DEP_3)
	v_add_f64_e32 v[19:20], v[21:22], v[19:20]
	v_fma_f64 v[21:22], v[46:47], s[46:47], v[232:233]
	v_add_f64_e32 v[23:24], v[23:24], v[196:197]
	s_delay_alu instid0(VALU_DEP_2) | instskip(SKIP_1) | instid1(VALU_DEP_1)
	v_add_f64_e32 v[17:18], v[21:22], v[17:18]
	v_fma_f64 v[21:22], v[48:49], s[48:49], v[234:235]
	v_add_f64_e32 v[19:20], v[21:22], v[19:20]
	v_fma_f64 v[21:22], v[39:40], s[42:43], v[236:237]
	s_delay_alu instid0(VALU_DEP_1) | instskip(SKIP_1) | instid1(VALU_DEP_1)
	v_add_f64_e32 v[17:18], v[21:22], v[17:18]
	v_fma_f64 v[21:22], v[44:45], s[52:53], v[238:239]
	v_add_f64_e32 v[19:20], v[21:22], v[19:20]
	v_fma_f64 v[21:22], v[31:32], s[34:35], v[240:241]
	s_delay_alu instid0(VALU_DEP_1) | instskip(SKIP_1) | instid1(VALU_DEP_1)
	;; [unrolled: 5-line block ×4, first 2 shown]
	v_add_f64_e32 v[17:18], v[21:22], v[17:18]
	v_fma_f64 v[21:22], v[33:34], s[28:29], v[250:251]
	v_add_f64_e32 v[19:20], v[21:22], v[19:20]
	v_fma_f64 v[21:22], v[54:55], s[34:35], v[27:28]
	v_fma_f64 v[27:28], v[54:55], s[34:35], -v[27:28]
	s_delay_alu instid0(VALU_DEP_2) | instskip(SKIP_1) | instid1(VALU_DEP_3)
	v_add_f64_e32 v[21:22], v[21:22], v[194:195]
	v_fma_f64 v[194:195], v[50:51], s[44:45], v[192:193]
	v_add_f64_e32 v[25:26], v[27:28], v[25:26]
	v_fma_f64 v[27:28], v[56:57], s[56:57], v[190:191]
	s_delay_alu instid0(VALU_DEP_3) | instskip(SKIP_1) | instid1(VALU_DEP_3)
	v_add_f64_e32 v[21:22], v[194:195], v[21:22]
	v_mul_f64_e32 v[194:195], s[44:45], v[146:147]
	v_add_f64_e32 v[27:28], v[27:28], v[198:199]
	v_mul_f64_e32 v[198:199], s[28:29], v[108:109]
	s_delay_alu instid0(VALU_DEP_3) | instskip(NEXT) | instid1(VALU_DEP_1)
	v_fma_f64 v[196:197], v[52:53], s[28:29], v[194:195]
	v_add_f64_e32 v[23:24], v[196:197], v[23:24]
	v_mul_f64_e32 v[196:197], s[26:27], v[140:141]
	s_delay_alu instid0(VALU_DEP_1) | instskip(NEXT) | instid1(VALU_DEP_1)
	v_fma_f64 v[252:253], v[46:47], s[42:43], v[196:197]
	v_add_f64_e32 v[21:22], v[252:253], v[21:22]
	v_mul_f64_e32 v[252:253], s[42:43], v[138:139]
	s_delay_alu instid0(VALU_DEP_1) | instskip(NEXT) | instid1(VALU_DEP_1)
	;; [unrolled: 4-line block ×4, first 2 shown]
	v_fma_f64 v[58:59], v[44:45], s[60:61], v[188:189]
	v_add_f64_e32 v[23:24], v[58:59], v[23:24]
	v_mul_f64_e32 v[58:59], s[64:65], v[108:109]
	s_delay_alu instid0(VALU_DEP_1) | instskip(SKIP_1) | instid1(VALU_DEP_2)
	v_fma_f64 v[148:149], v[31:32], s[40:41], v[58:59]
	v_fma_f64 v[58:59], v[31:32], s[40:41], -v[58:59]
	v_add_f64_e32 v[21:22], v[148:149], v[21:22]
	v_mul_f64_e32 v[148:149], s[40:41], v[106:107]
	s_delay_alu instid0(VALU_DEP_1) | instskip(NEXT) | instid1(VALU_DEP_1)
	v_fma_f64 v[60:61], v[37:38], s[24:25], v[148:149]
	v_add_f64_e32 v[23:24], v[60:61], v[23:24]
	v_mul_f64_e32 v[60:61], s[48:49], v[104:105]
	s_delay_alu instid0(VALU_DEP_1) | instskip(NEXT) | instid1(VALU_DEP_1)
	v_fma_f64 v[66:67], v[35:36], s[46:47], v[60:61]
	;; [unrolled: 4-line block ×5, first 2 shown]
	v_add_f64_e32 v[23:24], v[156:157], v[23:24]
	v_fma_f64 v[156:157], v[50:51], s[44:45], -v[192:193]
	s_delay_alu instid0(VALU_DEP_1) | instskip(SKIP_2) | instid1(VALU_DEP_2)
	v_add_f64_e32 v[25:26], v[156:157], v[25:26]
	v_fma_f64 v[156:157], v[52:53], s[58:59], v[194:195]
	v_mul_f64_e32 v[194:195], s[64:65], v[128:129]
	v_add_f64_e32 v[27:28], v[156:157], v[27:28]
	v_fma_f64 v[156:157], v[46:47], s[42:43], -v[196:197]
	v_mul_f64_e32 v[196:197], s[40:41], v[118:119]
	s_delay_alu instid0(VALU_DEP_2) | instskip(SKIP_2) | instid1(VALU_DEP_2)
	v_add_f64_e32 v[25:26], v[156:157], v[25:26]
	v_fma_f64 v[156:157], v[48:49], s[26:27], v[252:253]
	v_mul_f64_e32 v[252:253], s[30:31], v[102:103]
	v_add_f64_e32 v[27:28], v[156:157], v[27:28]
	v_fma_f64 v[156:157], v[39:40], s[30:31], -v[254:255]
	v_mul_f64_e32 v[254:255], s[52:53], v[96:97]
	s_delay_alu instid0(VALU_DEP_2) | instskip(SKIP_1) | instid1(VALU_DEP_2)
	v_add_f64_e32 v[25:26], v[156:157], v[25:26]
	v_fma_f64 v[156:157], v[44:45], s[12:13], v[188:189]
	v_add_f64_e32 v[25:26], v[58:59], v[25:26]
	s_delay_alu instid0(VALU_DEP_2) | instskip(SKIP_1) | instid1(VALU_DEP_1)
	v_add_f64_e32 v[27:28], v[156:157], v[27:28]
	v_fma_f64 v[58:59], v[37:38], s[64:65], v[148:149]
	v_add_f64_e32 v[27:28], v[58:59], v[27:28]
	v_fma_f64 v[58:59], v[35:36], s[46:47], -v[60:61]
	v_fma_f64 v[60:61], v[33:34], s[20:21], v[100:101]
	v_mul_f64_e32 v[100:101], s[48:49], v[150:151]
	s_delay_alu instid0(VALU_DEP_3) | instskip(SKIP_2) | instid1(VALU_DEP_4)
	v_add_f64_e32 v[25:26], v[58:59], v[25:26]
	v_fma_f64 v[58:59], v[29:30], s[48:49], v[66:67]
	v_mul_f64_e32 v[66:67], s[38:39], v[152:153]
	v_fma_f64 v[148:149], v[50:51], s[46:47], v[100:101]
	s_delay_alu instid0(VALU_DEP_3) | instskip(SKIP_1) | instid1(VALU_DEP_4)
	v_add_f64_e32 v[27:28], v[58:59], v[27:28]
	v_fma_f64 v[58:59], v[42:43], s[36:37], -v[98:99]
	v_fma_f64 v[98:99], v[56:57], s[22:23], v[66:67]
	v_fma_f64 v[66:67], v[56:57], s[54:55], v[66:67]
	s_delay_alu instid0(VALU_DEP_4) | instskip(NEXT) | instid1(VALU_DEP_4)
	v_add_f64_e32 v[27:28], v[60:61], v[27:28]
	v_add_f64_e32 v[25:26], v[58:59], v[25:26]
	v_mul_f64_e32 v[58:59], s[54:55], v[154:155]
	v_add_f64_e32 v[98:99], v[98:99], v[202:203]
	v_mul_f64_e32 v[202:203], s[12:13], v[104:105]
	;; [unrolled: 2-line block ×3, first 2 shown]
	v_mul_f64_e32 v[108:109], s[52:53], v[108:109]
	v_fma_f64 v[60:61], v[54:55], s[38:39], v[58:59]
	v_fma_f64 v[58:59], v[54:55], s[38:39], -v[58:59]
	s_delay_alu instid0(VALU_DEP_2) | instskip(SKIP_1) | instid1(VALU_DEP_3)
	v_add_f64_e32 v[60:61], v[60:61], v[200:201]
	v_mul_f64_e32 v[200:201], s[44:45], v[106:107]
	v_add_f64_e32 v[58:59], v[58:59], v[204:205]
	v_mul_f64_e32 v[204:205], s[46:47], v[118:119]
	v_mul_f64_e32 v[118:119], s[36:37], v[118:119]
	v_add_f64_e32 v[60:61], v[148:149], v[60:61]
	v_mul_f64_e32 v[148:149], s[46:47], v[146:147]
	s_delay_alu instid0(VALU_DEP_1) | instskip(NEXT) | instid1(VALU_DEP_1)
	v_fma_f64 v[156:157], v[52:53], s[50:51], v[148:149]
	v_add_f64_e32 v[98:99], v[156:157], v[98:99]
	v_mul_f64_e32 v[156:157], s[14:15], v[140:141]
	s_delay_alu instid0(VALU_DEP_1) | instskip(NEXT) | instid1(VALU_DEP_1)
	v_fma_f64 v[188:189], v[46:47], s[34:35], v[156:157]
	;; [unrolled: 4-line block ×3, first 2 shown]
	v_add_f64_e32 v[98:99], v[190:191], v[98:99]
	v_fma_f64 v[190:191], v[39:40], s[40:41], v[194:195]
	s_delay_alu instid0(VALU_DEP_1) | instskip(SKIP_1) | instid1(VALU_DEP_1)
	v_add_f64_e32 v[60:61], v[190:191], v[60:61]
	v_fma_f64 v[190:191], v[44:45], s[24:25], v[196:197]
	v_add_f64_e32 v[98:99], v[190:191], v[98:99]
	v_fma_f64 v[190:191], v[31:32], s[44:45], v[198:199]
	s_delay_alu instid0(VALU_DEP_1) | instskip(SKIP_1) | instid1(VALU_DEP_1)
	v_add_f64_e32 v[60:61], v[190:191], v[60:61]
	v_fma_f64 v[190:191], v[37:38], s[58:59], v[200:201]
	;; [unrolled: 5-line block ×3, first 2 shown]
	v_add_f64_e32 v[98:99], v[190:191], v[98:99]
	v_fma_f64 v[190:191], v[42:43], s[42:43], v[254:255]
	s_delay_alu instid0(VALU_DEP_1) | instskip(SKIP_1) | instid1(VALU_DEP_1)
	v_add_f64_e32 v[190:191], v[190:191], v[60:61]
	v_mul_f64_e32 v[60:61], s[42:43], v[94:95]
	v_fma_f64 v[192:193], v[33:34], s[26:27], v[60:61]
	v_fma_f64 v[60:61], v[33:34], s[52:53], v[60:61]
	s_delay_alu instid0(VALU_DEP_2) | instskip(SKIP_2) | instid1(VALU_DEP_2)
	v_add_f64_e32 v[192:193], v[192:193], v[98:99]
	v_fma_f64 v[98:99], v[50:51], s[46:47], -v[100:101]
	v_mul_f64_e32 v[100:101], s[24:25], v[150:151]
	v_add_f64_e32 v[58:59], v[98:99], v[58:59]
	v_fma_f64 v[98:99], v[52:53], s[48:49], v[148:149]
	s_delay_alu instid0(VALU_DEP_3) | instskip(NEXT) | instid1(VALU_DEP_2)
	v_fma_f64 v[148:149], v[50:51], s[40:41], v[100:101]
	v_add_f64_e32 v[66:67], v[98:99], v[66:67]
	v_fma_f64 v[98:99], v[46:47], s[34:35], -v[156:157]
	s_delay_alu instid0(VALU_DEP_1) | instskip(SKIP_1) | instid1(VALU_DEP_1)
	v_add_f64_e32 v[58:59], v[98:99], v[58:59]
	v_fma_f64 v[98:99], v[48:49], s[14:15], v[188:189]
	v_add_f64_e32 v[66:67], v[98:99], v[66:67]
	v_fma_f64 v[98:99], v[39:40], s[40:41], -v[194:195]
	s_delay_alu instid0(VALU_DEP_1) | instskip(SKIP_1) | instid1(VALU_DEP_1)
	v_add_f64_e32 v[58:59], v[98:99], v[58:59]
	;; [unrolled: 5-line block ×3, first 2 shown]
	v_fma_f64 v[98:99], v[37:38], s[28:29], v[200:201]
	v_add_f64_e32 v[66:67], v[98:99], v[66:67]
	v_fma_f64 v[98:99], v[35:36], s[30:31], -v[202:203]
	v_mul_f64_e32 v[202:203], s[48:49], v[128:129]
	v_mul_f64_e32 v[128:129], s[20:21], v[128:129]
	s_delay_alu instid0(VALU_DEP_3) | instskip(SKIP_3) | instid1(VALU_DEP_3)
	v_add_f64_e32 v[58:59], v[98:99], v[58:59]
	v_fma_f64 v[98:99], v[29:30], s[12:13], v[252:253]
	v_mul_f64_e32 v[252:253], s[44:45], v[102:103]
	v_mul_f64_e32 v[102:103], s[38:39], v[102:103]
	v_add_f64_e32 v[66:67], v[98:99], v[66:67]
	v_fma_f64 v[98:99], v[42:43], s[42:43], -v[254:255]
	v_mul_f64_e32 v[254:255], s[22:23], v[96:97]
	s_delay_alu instid0(VALU_DEP_3) | instskip(NEXT) | instid1(VALU_DEP_3)
	v_add_f64_e32 v[196:197], v[60:61], v[66:67]
	v_add_f64_e32 v[194:195], v[98:99], v[58:59]
	v_mul_f64_e32 v[58:59], s[52:53], v[154:155]
	v_mul_f64_e32 v[66:67], s[42:43], v[152:153]
	s_delay_alu instid0(VALU_DEP_2) | instskip(NEXT) | instid1(VALU_DEP_2)
	v_fma_f64 v[60:61], v[54:55], s[42:43], v[58:59]
	v_fma_f64 v[98:99], v[56:57], s[26:27], v[66:67]
	v_fma_f64 v[58:59], v[54:55], s[42:43], -v[58:59]
	v_fma_f64 v[66:67], v[56:57], s[52:53], v[66:67]
	s_delay_alu instid0(VALU_DEP_4) | instskip(NEXT) | instid1(VALU_DEP_4)
	v_add_f64_e32 v[60:61], v[60:61], v[208:209]
	v_add_f64_e32 v[98:99], v[98:99], v[210:211]
	v_mul_f64_e32 v[208:209], s[30:31], v[106:107]
	v_mul_f64_e32 v[210:211], s[58:59], v[104:105]
	v_add_f64_e32 v[58:59], v[58:59], v[212:213]
	v_add_f64_e32 v[66:67], v[66:67], v[214:215]
	v_mul_f64_e32 v[106:107], s[42:43], v[106:107]
	v_mul_f64_e32 v[104:105], s[22:23], v[104:105]
	v_add_f64_e32 v[60:61], v[148:149], v[60:61]
	v_mul_f64_e32 v[148:149], s[40:41], v[146:147]
	v_mul_f64_e32 v[146:147], s[34:35], v[146:147]
	s_delay_alu instid0(VALU_DEP_2) | instskip(NEXT) | instid1(VALU_DEP_1)
	v_fma_f64 v[156:157], v[52:53], s[64:65], v[148:149]
	v_add_f64_e32 v[98:99], v[156:157], v[98:99]
	v_mul_f64_e32 v[156:157], s[62:63], v[140:141]
	v_mul_f64_e32 v[140:141], s[58:59], v[140:141]
	s_delay_alu instid0(VALU_DEP_2) | instskip(NEXT) | instid1(VALU_DEP_1)
	v_fma_f64 v[188:189], v[46:47], s[36:37], v[156:157]
	;; [unrolled: 5-line block ×3, first 2 shown]
	v_add_f64_e32 v[98:99], v[198:199], v[98:99]
	v_fma_f64 v[198:199], v[39:40], s[46:47], v[202:203]
	s_delay_alu instid0(VALU_DEP_1) | instskip(SKIP_1) | instid1(VALU_DEP_1)
	v_add_f64_e32 v[60:61], v[198:199], v[60:61]
	v_fma_f64 v[198:199], v[44:45], s[50:51], v[204:205]
	v_add_f64_e32 v[98:99], v[198:199], v[98:99]
	v_fma_f64 v[198:199], v[31:32], s[30:31], v[206:207]
	s_delay_alu instid0(VALU_DEP_1) | instskip(SKIP_1) | instid1(VALU_DEP_1)
	v_add_f64_e32 v[60:61], v[198:199], v[60:61]
	v_fma_f64 v[198:199], v[37:38], s[60:61], v[208:209]
	;; [unrolled: 5-line block ×3, first 2 shown]
	v_add_f64_e32 v[98:99], v[198:199], v[98:99]
	v_fma_f64 v[198:199], v[42:43], s[38:39], v[254:255]
	s_delay_alu instid0(VALU_DEP_1) | instskip(SKIP_1) | instid1(VALU_DEP_1)
	v_add_f64_e32 v[198:199], v[198:199], v[60:61]
	v_mul_f64_e32 v[60:61], s[38:39], v[94:95]
	v_fma_f64 v[200:201], v[33:34], s[54:55], v[60:61]
	v_fma_f64 v[60:61], v[33:34], s[22:23], v[60:61]
	s_delay_alu instid0(VALU_DEP_2) | instskip(SKIP_3) | instid1(VALU_DEP_3)
	v_add_f64_e32 v[200:201], v[200:201], v[98:99]
	v_fma_f64 v[98:99], v[50:51], s[40:41], -v[100:101]
	v_mul_f64_e32 v[100:101], s[14:15], v[150:151]
	v_mul_f64_e32 v[150:151], s[40:41], v[94:95]
	v_add_f64_e32 v[58:59], v[98:99], v[58:59]
	v_fma_f64 v[98:99], v[52:53], s[24:25], v[148:149]
	s_delay_alu instid0(VALU_DEP_4) | instskip(NEXT) | instid1(VALU_DEP_2)
	v_fma_f64 v[148:149], v[50:51], s[34:35], v[100:101]
	v_add_f64_e32 v[66:67], v[98:99], v[66:67]
	v_fma_f64 v[98:99], v[46:47], s[36:37], -v[156:157]
	s_delay_alu instid0(VALU_DEP_1) | instskip(SKIP_1) | instid1(VALU_DEP_1)
	v_add_f64_e32 v[58:59], v[98:99], v[58:59]
	v_fma_f64 v[98:99], v[48:49], s[62:63], v[188:189]
	v_add_f64_e32 v[66:67], v[98:99], v[66:67]
	v_fma_f64 v[98:99], v[39:40], s[46:47], -v[202:203]
	s_delay_alu instid0(VALU_DEP_1) | instskip(SKIP_1) | instid1(VALU_DEP_1)
	v_add_f64_e32 v[58:59], v[98:99], v[58:59]
	;; [unrolled: 5-line block ×4, first 2 shown]
	v_fma_f64 v[98:99], v[29:30], s[58:59], v[252:253]
	v_add_f64_e32 v[66:67], v[98:99], v[66:67]
	v_fma_f64 v[98:99], v[42:43], s[38:39], -v[254:255]
	s_delay_alu instid0(VALU_DEP_2) | instskip(NEXT) | instid1(VALU_DEP_2)
	v_add_f64_e32 v[204:205], v[60:61], v[66:67]
	v_add_f64_e32 v[202:203], v[98:99], v[58:59]
	v_mul_f64_e32 v[58:59], s[50:51], v[154:155]
	v_mul_f64_e32 v[66:67], s[46:47], v[152:153]
	s_delay_alu instid0(VALU_DEP_2) | instskip(NEXT) | instid1(VALU_DEP_2)
	v_fma_f64 v[60:61], v[54:55], s[46:47], v[58:59]
	v_fma_f64 v[98:99], v[56:57], s[48:49], v[66:67]
	v_fma_f64 v[58:59], v[54:55], s[46:47], -v[58:59]
	s_delay_alu instid0(VALU_DEP_3) | instskip(NEXT) | instid1(VALU_DEP_3)
	v_add_f64_e32 v[60:61], v[60:61], v[216:217]
	v_add_f64_e32 v[98:99], v[98:99], v[218:219]
	s_delay_alu instid0(VALU_DEP_3) | instskip(NEXT) | instid1(VALU_DEP_3)
	v_add_f64_e32 v[58:59], v[58:59], v[220:221]
	v_add_f64_e32 v[60:61], v[148:149], v[60:61]
	v_fma_f64 v[148:149], v[52:53], s[56:57], v[146:147]
	s_delay_alu instid0(VALU_DEP_1) | instskip(SKIP_1) | instid1(VALU_DEP_1)
	v_add_f64_e32 v[98:99], v[148:149], v[98:99]
	v_fma_f64 v[148:149], v[46:47], s[44:45], v[140:141]
	v_add_f64_e32 v[60:61], v[148:149], v[60:61]
	v_fma_f64 v[148:149], v[48:49], s[28:29], v[138:139]
	s_delay_alu instid0(VALU_DEP_1) | instskip(SKIP_1) | instid1(VALU_DEP_1)
	v_add_f64_e32 v[98:99], v[148:149], v[98:99]
	v_fma_f64 v[148:149], v[39:40], s[36:37], v[128:129]
	;; [unrolled: 5-line block ×4, first 2 shown]
	v_add_f64_e32 v[60:61], v[148:149], v[60:61]
	v_fma_f64 v[148:149], v[29:30], s[54:55], v[102:103]
	s_delay_alu instid0(VALU_DEP_1) | instskip(SKIP_1) | instid1(VALU_DEP_1)
	v_add_f64_e32 v[98:99], v[148:149], v[98:99]
	v_mul_f64_e32 v[148:149], s[64:65], v[96:97]
	v_fma_f64 v[94:95], v[42:43], s[40:41], v[148:149]
	s_delay_alu instid0(VALU_DEP_1) | instskip(SKIP_1) | instid1(VALU_DEP_1)
	v_add_f64_e32 v[94:95], v[94:95], v[60:61]
	v_fma_f64 v[60:61], v[33:34], s[24:25], v[150:151]
	v_add_f64_e32 v[96:97], v[60:61], v[98:99]
	v_fma_f64 v[60:61], v[56:57], s[50:51], v[66:67]
	v_fma_f64 v[66:67], v[50:51], s[34:35], -v[100:101]
	v_fma_f64 v[98:99], v[33:34], s[64:65], v[150:151]
	v_fma_f64 v[100:101], v[33:34], s[14:15], v[186:187]
	s_delay_alu instid0(VALU_DEP_4) | instskip(NEXT) | instid1(VALU_DEP_4)
	v_add_f64_e32 v[60:61], v[60:61], v[222:223]
	v_add_f64_e32 v[58:59], v[66:67], v[58:59]
	v_fma_f64 v[66:67], v[52:53], s[14:15], v[146:147]
	s_delay_alu instid0(VALU_DEP_1) | instskip(SKIP_1) | instid1(VALU_DEP_1)
	v_add_f64_e32 v[60:61], v[66:67], v[60:61]
	v_fma_f64 v[66:67], v[46:47], s[44:45], -v[140:141]
	v_add_f64_e32 v[58:59], v[66:67], v[58:59]
	v_fma_f64 v[66:67], v[48:49], s[58:59], v[138:139]
	s_delay_alu instid0(VALU_DEP_1) | instskip(SKIP_1) | instid1(VALU_DEP_1)
	v_add_f64_e32 v[60:61], v[66:67], v[60:61]
	v_fma_f64 v[66:67], v[39:40], s[36:37], -v[128:129]
	;; [unrolled: 5-line block ×4, first 2 shown]
	v_add_f64_e32 v[58:59], v[66:67], v[58:59]
	v_fma_f64 v[66:67], v[29:30], s[22:23], v[102:103]
	s_delay_alu instid0(VALU_DEP_1) | instskip(SKIP_1) | instid1(VALU_DEP_2)
	v_add_f64_e32 v[60:61], v[66:67], v[60:61]
	v_fma_f64 v[66:67], v[42:43], s[40:41], -v[148:149]
	v_add_f64_e32 v[104:105], v[98:99], v[60:61]
	s_delay_alu instid0(VALU_DEP_2) | instskip(SKIP_4) | instid1(VALU_DEP_3)
	v_add_f64_e32 v[102:103], v[66:67], v[58:59]
	scratch_load_b64 v[66:67], off, off offset:64 th:TH_LOAD_LU ; 8-byte Folded Reload
	v_fma_f64 v[58:59], v[54:55], s[30:31], -v[224:225]
	v_fma_f64 v[60:61], v[56:57], s[12:13], v[226:227]
	v_fma_f64 v[98:99], v[33:34], s[58:59], v[250:251]
	v_add_f64_e32 v[58:59], v[58:59], v[158:159]
	s_wait_loadcnt 0x0
	s_delay_alu instid0(VALU_DEP_3) | instskip(SKIP_1) | instid1(VALU_DEP_1)
	v_add_f64_e32 v[60:61], v[60:61], v[66:67]
	v_fma_f64 v[66:67], v[50:51], s[38:39], -v[228:229]
	v_add_f64_e32 v[58:59], v[66:67], v[58:59]
	v_fma_f64 v[66:67], v[52:53], s[54:55], v[230:231]
	s_delay_alu instid0(VALU_DEP_1) | instskip(SKIP_1) | instid1(VALU_DEP_1)
	v_add_f64_e32 v[60:61], v[66:67], v[60:61]
	v_fma_f64 v[66:67], v[46:47], s[46:47], -v[232:233]
	v_add_f64_e32 v[58:59], v[66:67], v[58:59]
	v_fma_f64 v[66:67], v[48:49], s[50:51], v[234:235]
	s_delay_alu instid0(VALU_DEP_1) | instskip(SKIP_1) | instid1(VALU_DEP_1)
	;; [unrolled: 5-line block ×4, first 2 shown]
	v_add_f64_e32 v[60:61], v[66:67], v[60:61]
	v_fma_f64 v[66:67], v[35:36], s[36:37], -v[244:245]
	v_add_f64_e32 v[58:59], v[66:67], v[58:59]
	v_fma_f64 v[66:67], v[29:30], s[62:63], v[246:247]
	s_delay_alu instid0(VALU_DEP_1) | instskip(SKIP_1) | instid1(VALU_DEP_2)
	v_add_f64_e32 v[60:61], v[66:67], v[60:61]
	v_fma_f64 v[66:67], v[42:43], s[44:45], -v[248:249]
	v_add_f64_e32 v[108:109], v[98:99], v[60:61]
	scratch_load_b64 v[60:61], off, off offset:56 th:TH_LOAD_LU ; 8-byte Folded Reload
	v_add_f64_e32 v[106:107], v[66:67], v[58:59]
	scratch_load_b64 v[66:67], off, off offset:48 th:TH_LOAD_LU ; 8-byte Folded Reload
	v_fma_f64 v[58:59], v[54:55], s[36:37], -v[160:161]
	s_wait_loadcnt 0x1
	s_delay_alu instid0(VALU_DEP_1) | instskip(SKIP_2) | instid1(VALU_DEP_1)
	v_add_f64_e32 v[58:59], v[58:59], v[60:61]
	v_fma_f64 v[60:61], v[56:57], s[20:21], v[162:163]
	s_wait_loadcnt 0x0
	v_add_f64_e32 v[60:61], v[60:61], v[66:67]
	v_fma_f64 v[66:67], v[50:51], s[30:31], -v[164:165]
	s_delay_alu instid0(VALU_DEP_1) | instskip(SKIP_1) | instid1(VALU_DEP_1)
	v_add_f64_e32 v[58:59], v[66:67], v[58:59]
	v_fma_f64 v[66:67], v[52:53], s[60:61], v[166:167]
	v_add_f64_e32 v[60:61], v[66:67], v[60:61]
	v_fma_f64 v[66:67], v[46:47], s[38:39], -v[168:169]
	s_delay_alu instid0(VALU_DEP_1) | instskip(SKIP_1) | instid1(VALU_DEP_1)
	v_add_f64_e32 v[58:59], v[66:67], v[58:59]
	v_fma_f64 v[66:67], v[48:49], s[54:55], v[170:171]
	;; [unrolled: 5-line block ×5, first 2 shown]
	v_add_f64_e32 v[60:61], v[66:67], v[60:61]
	v_fma_f64 v[66:67], v[42:43], s[34:35], -v[184:185]
	s_delay_alu instid0(VALU_DEP_2)
	v_add_f64_e32 v[100:101], v[100:101], v[60:61]
	scratch_load_b64 v[60:61], off, off offset:40 th:TH_LOAD_LU ; 8-byte Folded Reload
	v_add_f64_e32 v[98:99], v[66:67], v[58:59]
	scratch_load_b64 v[66:67], off, off offset:32 th:TH_LOAD_LU ; 8-byte Folded Reload
	v_fma_f64 v[58:59], v[54:55], s[40:41], -v[110:111]
	v_fma_f64 v[54:55], v[54:55], s[44:45], -v[64:65]
	s_wait_loadcnt 0x1
	s_delay_alu instid0(VALU_DEP_2)
	v_add_f64_e32 v[58:59], v[58:59], v[60:61]
	v_fma_f64 v[60:61], v[56:57], s[24:25], v[112:113]
	v_fma_f64 v[56:57], v[56:57], s[28:29], v[68:69]
	v_fma_f64 v[112:113], v[33:34], s[50:51], v[144:145]
	v_fma_f64 v[33:34], v[33:34], s[12:13], v[92:93]
	s_wait_loadcnt 0x0
	s_delay_alu instid0(VALU_DEP_4) | instskip(SKIP_2) | instid1(VALU_DEP_2)
	v_add_f64_e32 v[60:61], v[60:61], v[66:67]
	v_fma_f64 v[66:67], v[50:51], s[36:37], -v[114:115]
	v_fma_f64 v[50:51], v[50:51], s[42:43], -v[70:71]
	v_add_f64_e32 v[58:59], v[66:67], v[58:59]
	v_fma_f64 v[66:67], v[52:53], s[20:21], v[116:117]
	v_fma_f64 v[52:53], v[52:53], s[26:27], v[72:73]
	s_delay_alu instid0(VALU_DEP_2) | instskip(SKIP_2) | instid1(VALU_DEP_2)
	v_add_f64_e32 v[60:61], v[66:67], v[60:61]
	v_fma_f64 v[66:67], v[46:47], s[30:31], -v[120:121]
	v_fma_f64 v[46:47], v[46:47], s[40:41], -v[74:75]
	v_add_f64_e32 v[58:59], v[66:67], v[58:59]
	v_fma_f64 v[66:67], v[48:49], s[12:13], v[122:123]
	v_fma_f64 v[48:49], v[48:49], s[24:25], v[76:77]
	s_delay_alu instid0(VALU_DEP_2) | instskip(SKIP_2) | instid1(VALU_DEP_2)
	;; [unrolled: 7-line block ×4, first 2 shown]
	v_add_f64_e32 v[60:61], v[66:67], v[60:61]
	v_fma_f64 v[66:67], v[35:36], s[42:43], -v[134:135]
	v_fma_f64 v[35:36], v[35:36], s[34:35], -v[86:87]
	v_add_f64_e32 v[58:59], v[66:67], v[58:59]
	v_fma_f64 v[66:67], v[29:30], s[52:53], v[136:137]
	v_fma_f64 v[29:30], v[29:30], s[14:15], v[88:89]
	s_delay_alu instid0(VALU_DEP_2) | instskip(SKIP_1) | instid1(VALU_DEP_2)
	v_add_f64_e32 v[60:61], v[66:67], v[60:61]
	v_fma_f64 v[66:67], v[42:43], s[46:47], -v[142:143]
	v_add_f64_e32 v[112:113], v[112:113], v[60:61]
	s_delay_alu instid0(VALU_DEP_2)
	v_add_f64_e32 v[110:111], v[66:67], v[58:59]
	scratch_load_b64 v[58:59], off, off offset:16 th:TH_LOAD_LU ; 8-byte Folded Reload
	s_wait_loadcnt 0x0
	v_add_f64_e32 v[54:55], v[54:55], v[58:59]
	scratch_load_b64 v[58:59], off, off offset:24 th:TH_LOAD_LU ; 8-byte Folded Reload
	v_add_f64_e32 v[50:51], v[50:51], v[54:55]
	s_delay_alu instid0(VALU_DEP_1) | instskip(NEXT) | instid1(VALU_DEP_1)
	v_add_f64_e32 v[46:47], v[46:47], v[50:51]
	v_add_f64_e32 v[39:40], v[39:40], v[46:47]
	s_delay_alu instid0(VALU_DEP_1) | instskip(NEXT) | instid1(VALU_DEP_1)
	v_add_f64_e32 v[31:32], v[31:32], v[39:40]
	v_add_f64_e32 v[31:32], v[35:36], v[31:32]
	s_wait_loadcnt 0x0
	v_add_f64_e32 v[56:57], v[56:57], v[58:59]
	s_delay_alu instid0(VALU_DEP_1) | instskip(NEXT) | instid1(VALU_DEP_1)
	v_add_f64_e32 v[52:53], v[52:53], v[56:57]
	v_add_f64_e32 v[48:49], v[48:49], v[52:53]
	s_delay_alu instid0(VALU_DEP_1) | instskip(NEXT) | instid1(VALU_DEP_1)
	v_add_f64_e32 v[44:45], v[44:45], v[48:49]
	v_add_f64_e32 v[37:38], v[37:38], v[44:45]
	s_delay_alu instid0(VALU_DEP_1) | instskip(SKIP_1) | instid1(VALU_DEP_1)
	v_add_f64_e32 v[35:36], v[29:30], v[37:38]
	v_fma_f64 v[29:30], v[42:43], s[30:31], -v[90:91]
	v_add_f64_e32 v[29:30], v[29:30], v[31:32]
	s_delay_alu instid0(VALU_DEP_3)
	v_add_f64_e32 v[31:32], v[33:34], v[35:36]
	scratch_load_b32 v33, off, off offset:8 th:TH_LOAD_LU ; 4-byte Folded Reload
	global_wb scope:SCOPE_SE
	s_wait_loadcnt 0x0
	s_wait_storecnt 0x0
	s_barrier_signal -1
	s_barrier_wait -1
	global_inv scope:SCOPE_SE
	v_mad_u32_u24 v33, 0x110, v0, v33
	ds_store_b128 v33, v[5:8]
	ds_store_b128 v33, v[1:4] offset:16
	ds_store_b128 v33, v[9:12] offset:32
	;; [unrolled: 1-line block ×16, first 2 shown]
	v_lshlrev_b32_e32 v17, 8, v0
	global_wb scope:SCOPE_SE
	s_wait_dscnt 0x0
	s_barrier_signal -1
	s_barrier_wait -1
	global_inv scope:SCOPE_SE
	s_clause 0x3
	global_load_b128 v[13:16], v17, s[4:5]
	global_load_b128 v[9:12], v17, s[4:5] offset:16
	global_load_b128 v[5:8], v17, s[4:5] offset:32
	;; [unrolled: 1-line block ×3, first 2 shown]
	scratch_load_b32 v0, off, off th:TH_LOAD_LU ; 4-byte Folded Reload
	ds_load_b128 v[18:21], v63 offset:272
	s_wait_loadcnt 0x0
	ds_load_b128 v[37:40], v0
	ds_load_b128 v[22:25], v63 offset:544
	ds_load_b128 v[26:29], v63 offset:816
	s_wait_dscnt 0x3
	v_mul_f64_e32 v[30:31], v[20:21], v[15:16]
	v_mul_f64_e32 v[15:16], v[18:19], v[15:16]
	s_wait_dscnt 0x1
	v_mul_f64_e32 v[32:33], v[24:25], v[11:12]
	v_mul_f64_e32 v[11:12], v[22:23], v[11:12]
	s_delay_alu instid0(VALU_DEP_4) | instskip(NEXT) | instid1(VALU_DEP_4)
	v_fma_f64 v[30:31], v[18:19], v[13:14], v[30:31]
	v_fma_f64 v[34:35], v[20:21], v[13:14], -v[15:16]
	s_wait_dscnt 0x0
	v_mul_f64_e32 v[15:16], v[28:29], v[7:8]
	v_mul_f64_e32 v[18:19], v[26:27], v[7:8]
	v_fma_f64 v[56:57], v[22:23], v[9:10], v[32:33]
	v_fma_f64 v[64:65], v[24:25], v[9:10], -v[11:12]
	ds_load_b128 v[11:14], v63 offset:1088
	global_load_b128 v[7:10], v17, s[4:5] offset:64
	v_fma_f64 v[66:67], v[26:27], v[5:6], v[15:16]
	v_fma_f64 v[68:69], v[28:29], v[5:6], -v[18:19]
	ds_load_b128 v[18:21], v63 offset:1360
	s_wait_dscnt 0x1
	v_mul_f64_e32 v[5:6], v[13:14], v[3:4]
	v_mul_f64_e32 v[3:4], v[11:12], v[3:4]
	s_delay_alu instid0(VALU_DEP_2) | instskip(NEXT) | instid1(VALU_DEP_2)
	v_fma_f64 v[70:71], v[11:12], v[1:2], v[5:6]
	v_fma_f64 v[72:73], v[13:14], v[1:2], -v[3:4]
	global_load_b128 v[0:3], v17, s[4:5] offset:80
	s_wait_loadcnt_dscnt 0x100
	v_mul_f64_e32 v[4:5], v[20:21], v[9:10]
	v_mul_f64_e32 v[9:10], v[18:19], v[9:10]
	s_delay_alu instid0(VALU_DEP_2) | instskip(NEXT) | instid1(VALU_DEP_2)
	v_fma_f64 v[74:75], v[18:19], v[7:8], v[4:5]
	v_fma_f64 v[76:77], v[20:21], v[7:8], -v[9:10]
	ds_load_b128 v[4:7], v63 offset:1632
	ds_load_b128 v[8:11], v63 offset:1904
	s_wait_loadcnt_dscnt 0x1
	v_mul_f64_e32 v[12:13], v[6:7], v[2:3]
	v_mul_f64_e32 v[2:3], v[4:5], v[2:3]
	s_delay_alu instid0(VALU_DEP_2) | instskip(NEXT) | instid1(VALU_DEP_2)
	v_fma_f64 v[78:79], v[4:5], v[0:1], v[12:13]
	v_fma_f64 v[80:81], v[6:7], v[0:1], -v[2:3]
	s_clause 0x1
	global_load_b128 v[0:3], v17, s[4:5] offset:96
	global_load_b128 v[4:7], v17, s[4:5] offset:112
	s_wait_loadcnt_dscnt 0x100
	v_mul_f64_e32 v[12:13], v[10:11], v[2:3]
	v_mul_f64_e32 v[2:3], v[8:9], v[2:3]
	s_delay_alu instid0(VALU_DEP_2) | instskip(NEXT) | instid1(VALU_DEP_2)
	v_fma_f64 v[82:83], v[8:9], v[0:1], v[12:13]
	v_fma_f64 v[84:85], v[10:11], v[0:1], -v[2:3]
	ds_load_b128 v[0:3], v63 offset:2176
	ds_load_b128 v[8:11], v63 offset:2448
	s_wait_loadcnt_dscnt 0x1
	v_mul_f64_e32 v[12:13], v[2:3], v[6:7]
	s_delay_alu instid0(VALU_DEP_1) | instskip(SKIP_1) | instid1(VALU_DEP_1)
	v_fma_f64 v[86:87], v[0:1], v[4:5], v[12:13]
	v_mul_f64_e32 v[0:1], v[0:1], v[6:7]
	v_fma_f64 v[88:89], v[2:3], v[4:5], -v[0:1]
	s_clause 0x1
	global_load_b128 v[0:3], v17, s[4:5] offset:128
	global_load_b128 v[4:7], v17, s[4:5] offset:144
	s_wait_loadcnt_dscnt 0x100
	v_mul_f64_e32 v[12:13], v[10:11], v[2:3]
	v_mul_f64_e32 v[2:3], v[8:9], v[2:3]
	s_delay_alu instid0(VALU_DEP_2) | instskip(NEXT) | instid1(VALU_DEP_2)
	v_fma_f64 v[96:97], v[8:9], v[0:1], v[12:13]
	v_fma_f64 v[98:99], v[10:11], v[0:1], -v[2:3]
	ds_load_b128 v[0:3], v63 offset:2720
	ds_load_b128 v[8:11], v63 offset:2992
	s_wait_loadcnt_dscnt 0x1
	v_mul_f64_e32 v[12:13], v[2:3], v[6:7]
	v_add_f64_e32 v[186:187], v[86:87], v[96:97]
	v_add_f64_e64 v[190:191], v[86:87], -v[96:97]
	s_delay_alu instid0(VALU_DEP_3) | instskip(SKIP_1) | instid1(VALU_DEP_2)
	v_fma_f64 v[100:101], v[0:1], v[4:5], v[12:13]
	v_mul_f64_e32 v[0:1], v[0:1], v[6:7]
	v_add_f64_e32 v[174:175], v[82:83], v[100:101]
	s_delay_alu instid0(VALU_DEP_2)
	v_fma_f64 v[108:109], v[2:3], v[4:5], -v[0:1]
	s_clause 0x1
	global_load_b128 v[0:3], v17, s[4:5] offset:160
	global_load_b128 v[4:7], v17, s[4:5] offset:176
	v_add_f64_e64 v[178:179], v[82:83], -v[100:101]
	s_wait_loadcnt_dscnt 0x100
	v_mul_f64_e32 v[12:13], v[10:11], v[2:3]
	v_mul_f64_e32 v[2:3], v[8:9], v[2:3]
	s_delay_alu instid0(VALU_DEP_2) | instskip(NEXT) | instid1(VALU_DEP_2)
	v_fma_f64 v[112:113], v[8:9], v[0:1], v[12:13]
	v_fma_f64 v[114:115], v[10:11], v[0:1], -v[2:3]
	ds_load_b128 v[0:3], v63 offset:3264
	ds_load_b128 v[8:11], v63 offset:3536
	s_wait_loadcnt_dscnt 0x1
	v_mul_f64_e32 v[12:13], v[2:3], v[6:7]
	v_add_f64_e32 v[158:159], v[78:79], v[112:113]
	v_add_f64_e64 v[162:163], v[78:79], -v[112:113]
	s_delay_alu instid0(VALU_DEP_3)
	v_fma_f64 v[116:117], v[0:1], v[4:5], v[12:13]
	v_mul_f64_e32 v[0:1], v[0:1], v[6:7]
	global_load_b128 v[12:15], v17, s[4:5] offset:224
	v_add_f64_e32 v[146:147], v[74:75], v[116:117]
	v_fma_f64 v[118:119], v[2:3], v[4:5], -v[0:1]
	global_load_b128 v[0:3], v17, s[4:5] offset:240
	ds_load_b128 v[4:7], v63 offset:4352
	v_add_f64_e64 v[150:151], v[74:75], -v[116:117]
	v_add_f64_e64 v[226:227], v[76:77], -v[118:119]
	v_add_f64_e32 v[228:229], v[76:77], v[118:119]
	s_delay_alu instid0(VALU_DEP_2) | instskip(NEXT) | instid1(VALU_DEP_2)
	v_mul_f64_e32 v[210:211], s[56:57], v[226:227]
	v_mul_f64_e32 v[212:213], s[34:35], v[228:229]
	;; [unrolled: 1-line block ×4, first 2 shown]
	s_wait_loadcnt_dscnt 0x0
	v_mul_f64_e32 v[18:19], v[4:5], v[2:3]
	v_mul_f64_e32 v[2:3], v[6:7], v[2:3]
	s_delay_alu instid0(VALU_DEP_2) | instskip(NEXT) | instid1(VALU_DEP_2)
	v_fma_f64 v[18:19], v[6:7], v[0:1], -v[18:19]
	v_fma_f64 v[20:21], v[4:5], v[0:1], v[2:3]
	s_clause 0x1
	global_load_b128 v[0:3], v17, s[4:5] offset:192
	global_load_b128 v[4:7], v17, s[4:5] offset:208
	s_mul_u64 s[4:5], s[0:1], s[18:19]
	v_dual_mov_b32 v53, v19 :: v_dual_mov_b32 v52, v18
	v_dual_mov_b32 v55, v21 :: v_dual_mov_b32 v54, v20
	s_delay_alu instid0(VALU_DEP_1) | instskip(SKIP_3) | instid1(VALU_DEP_2)
	v_add_f64_e64 v[92:93], v[30:31], -v[54:55]
	s_wait_loadcnt 0x1
	v_mul_f64_e32 v[16:17], v[10:11], v[2:3]
	v_mul_f64_e32 v[2:3], v[8:9], v[2:3]
	v_fma_f64 v[168:169], v[8:9], v[0:1], v[16:17]
	s_delay_alu instid0(VALU_DEP_2)
	v_fma_f64 v[166:167], v[10:11], v[0:1], -v[2:3]
	ds_load_b128 v[0:3], v63 offset:3808
	ds_load_b128 v[8:11], v63 offset:4080
	s_wait_loadcnt_dscnt 0x1
	v_mul_f64_e32 v[16:17], v[2:3], v[6:7]
	v_add_f64_e64 v[194:195], v[72:73], -v[166:167]
	v_add_f64_e32 v[196:197], v[72:73], v[166:167]
	s_delay_alu instid0(VALU_DEP_3)
	v_fma_f64 v[152:153], v[0:1], v[4:5], v[16:17]
	v_mul_f64_e32 v[0:1], v[0:1], v[6:7]
	v_add_f64_e32 v[16:17], v[30:31], v[20:21]
	v_mul_f64_e32 v[120:121], s[12:13], v[194:195]
	v_mul_f64_e32 v[160:161], s[30:31], v[196:197]
	;; [unrolled: 1-line block ×4, first 2 shown]
	v_fma_f64 v[148:149], v[2:3], v[4:5], -v[0:1]
	s_wait_dscnt 0x0
	v_mul_f64_e32 v[0:1], v[10:11], v[14:15]
	s_delay_alu instid0(VALU_DEP_2) | instskip(NEXT) | instid1(VALU_DEP_2)
	v_add_f64_e64 v[182:183], v[68:69], -v[148:149]
	v_fma_f64 v[144:145], v[8:9], v[12:13], v[0:1]
	v_mul_f64_e32 v[0:1], v[8:9], v[14:15]
	v_add_f64_e32 v[184:185], v[68:69], v[148:149]
	s_delay_alu instid0(VALU_DEP_4) | instskip(NEXT) | instid1(VALU_DEP_3)
	v_mul_f64_e32 v[128:129], s[20:21], v[182:183]
	v_fma_f64 v[136:137], v[10:11], v[12:13], -v[0:1]
	v_add_f64_e64 v[0:1], v[34:35], -v[18:19]
	s_delay_alu instid0(VALU_DEP_4) | instskip(SKIP_1) | instid1(VALU_DEP_4)
	v_mul_f64_e32 v[124:125], s[36:37], v[184:185]
	v_mul_f64_e32 v[236:237], s[30:31], v[184:185]
	v_add_f64_e64 v[170:171], v[64:65], -v[136:137]
	s_delay_alu instid0(VALU_DEP_4)
	v_mul_f64_e32 v[4:5], s[28:29], v[0:1]
	v_mul_f64_e32 v[2:3], s[48:49], v[0:1]
	;; [unrolled: 1-line block ×8, first 2 shown]
	v_add_f64_e32 v[172:173], v[64:65], v[136:137]
	v_mul_f64_e32 v[132:133], s[24:25], v[170:171]
	v_fma_f64 v[20:21], v[16:17], s[44:45], v[4:5]
	v_fma_f64 v[22:23], v[16:17], s[44:45], -v[4:5]
	v_add_f64_e32 v[4:5], v[34:35], v[52:53]
	v_fma_f64 v[18:19], v[16:17], s[46:47], v[2:3]
	v_fma_f64 v[2:3], v[16:17], s[46:47], -v[2:3]
	v_fma_f64 v[26:27], v[16:17], s[40:41], v[8:9]
	v_fma_f64 v[28:29], v[16:17], s[40:41], -v[8:9]
	;; [unrolled: 2-line block ×7, first 2 shown]
	v_mul_f64_e32 v[130:131], s[40:41], v[172:173]
	v_mul_f64_e32 v[230:231], s[20:21], v[170:171]
	;; [unrolled: 1-line block ×4, first 2 shown]
	v_add_f64_e32 v[2:3], v[37:38], v[2:3]
	v_mul_f64_e32 v[15:16], s[42:43], v[4:5]
	v_mul_f64_e32 v[58:59], s[38:39], v[4:5]
	;; [unrolled: 1-line block ×3, first 2 shown]
	v_add_f64_e32 v[0:1], v[37:38], v[0:1]
	scratch_store_b64 off, v[52:53], off offset:16 ; 8-byte Folded Spill
	v_mul_f64_e32 v[52:53], s[40:41], v[4:5]
	v_mul_f64_e32 v[90:91], s[34:35], v[4:5]
	;; [unrolled: 1-line block ×3, first 2 shown]
	v_add_f64_e32 v[140:141], v[37:38], v[18:19]
	v_add_f64_e32 v[156:157], v[37:38], v[26:27]
	v_add_f64_e32 v[94:95], v[37:38], v[44:45]
	v_mul_f64_e32 v[44:45], s[34:35], v[172:173]
	v_fma_f64 v[102:103], v[92:93], s[50:51], v[8:9]
	v_fma_f64 v[8:9], v[92:93], s[48:49], v[8:9]
	scratch_store_b64 off, v[2:3], off      ; 8-byte Folded Spill
	v_fma_f64 v[104:105], v[92:93], s[58:59], v[10:11]
	v_fma_f64 v[10:11], v[92:93], s[28:29], v[10:11]
	;; [unrolled: 1-line block ×3, first 2 shown]
	scratch_store_b64 off, v[0:1], off offset:232 ; 8-byte Folded Spill
	v_fma_f64 v[15:16], v[92:93], s[26:27], v[15:16]
	v_fma_f64 v[110:111], v[92:93], s[64:65], v[52:53]
	;; [unrolled: 1-line block ×11, first 2 shown]
	v_add_f64_e32 v[4:5], v[37:38], v[30:31]
	v_add_f64_e32 v[142:143], v[39:40], v[102:103]
	;; [unrolled: 1-line block ×3, first 2 shown]
	scratch_store_b64 off, v[54:55], off offset:48 ; 8-byte Folded Spill
	v_add_f64_e32 v[54:55], v[39:40], v[104:105]
	v_add_f64_e32 v[102:103], v[37:38], v[20:21]
	;; [unrolled: 1-line block ×3, first 2 shown]
	v_mul_f64_e32 v[104:105], s[30:31], v[172:173]
	v_add_f64_e32 v[154:155], v[39:40], v[110:111]
	v_add_f64_e64 v[110:111], v[56:57], -v[144:145]
	v_add_f64_e32 v[17:18], v[39:40], v[122:123]
	v_add_f64_e32 v[122:123], v[66:67], v[152:153]
	v_add_f64_e32 v[202:203], v[39:40], v[126:127]
	v_add_f64_e64 v[126:127], v[66:67], -v[152:153]
	v_add_f64_e32 v[0:1], v[39:40], v[92:93]
	scratch_store_b64 off, v[2:3], off offset:8 ; 8-byte Folded Spill
	v_add_f64_e32 v[2:3], v[37:38], v[22:23]
	scratch_store_b64 off, v[2:3], off offset:32 ; 8-byte Folded Spill
	;; [unrolled: 2-line block ×3, first 2 shown]
	v_add_f64_e32 v[4:5], v[39:40], v[34:35]
	v_add_f64_e32 v[9:10], v[39:40], v[106:107]
	;; [unrolled: 1-line block ×5, first 2 shown]
	v_add_f64_e64 v[60:61], v[84:85], -v[108:109]
	v_add_f64_e32 v[35:36], v[84:85], v[108:109]
	scratch_store_b64 off, v[2:3], off offset:24 ; 8-byte Folded Spill
	v_add_f64_e32 v[2:3], v[37:38], v[6:7]
	v_mul_f64_e32 v[6:7], s[26:27], v[182:183]
	v_mul_f64_e32 v[176:177], s[14:15], v[60:61]
	;; [unrolled: 1-line block ×7, first 2 shown]
	scratch_store_b64 off, v[2:3], off offset:72 ; 8-byte Folded Spill
	v_add_f64_e32 v[2:3], v[39:40], v[15:16]
	scratch_store_b64 off, v[4:5], off offset:88 ; 8-byte Folded Spill
	v_fma_f64 v[15:16], v[122:123], s[42:43], v[6:7]
	v_mul_f64_e32 v[4:5], s[12:13], v[60:61]
	scratch_store_b64 off, v[2:3], off offset:64 ; 8-byte Folded Spill
	v_add_f64_e32 v[2:3], v[37:38], v[28:29]
	v_add_f64_e64 v[29:30], v[88:89], -v[98:99]
	v_add_f64_e32 v[27:28], v[88:89], v[98:99]
	scratch_store_b64 off, v[2:3], off offset:120 ; 8-byte Folded Spill
	v_add_f64_e32 v[2:3], v[39:40], v[52:53]
	v_mul_f64_e32 v[188:189], s[12:13], v[29:30]
	v_mul_f64_e32 v[192:193], s[30:31], v[27:28]
	;; [unrolled: 1-line block ×6, first 2 shown]
	scratch_store_b64 off, v[2:3], off offset:112 ; 8-byte Folded Spill
	v_add_f64_e32 v[2:3], v[37:38], v[42:43]
	v_mul_f64_e32 v[42:43], s[58:59], v[182:183]
	scratch_store_b64 off, v[2:3], off offset:184 ; 8-byte Folded Spill
	v_add_f64_e32 v[2:3], v[39:40], v[58:59]
	v_add_f64_e32 v[58:59], v[80:81], v[114:115]
	scratch_store_b64 off, v[2:3], off offset:176 ; 8-byte Folded Spill
	v_add_f64_e32 v[2:3], v[37:38], v[46:47]
	v_mul_f64_e32 v[164:165], s[36:37], v[58:59]
	v_mul_f64_e32 v[216:217], s[38:39], v[58:59]
	;; [unrolled: 1-line block ×4, first 2 shown]
	scratch_store_b64 off, v[2:3], off offset:360 ; 8-byte Folded Spill
	v_add_f64_e32 v[2:3], v[37:38], v[48:49]
	v_mul_f64_e32 v[48:49], s[44:45], v[184:185]
	scratch_store_b64 off, v[2:3], off offset:352 ; 8-byte Folded Spill
	v_add_f64_e32 v[2:3], v[39:40], v[134:135]
	v_add_f64_e32 v[134:135], v[70:71], v[168:169]
	scratch_store_b64 off, v[2:3], off offset:336 ; 8-byte Folded Spill
	v_add_f64_e32 v[2:3], v[37:38], v[13:14]
	scratch_store_b64 off, v[2:3], off offset:304 ; 8-byte Folded Spill
	v_add_f64_e32 v[2:3], v[39:40], v[90:91]
	v_mul_f64_e32 v[90:91], s[26:27], v[226:227]
	scratch_store_b64 off, v[2:3], off offset:296 ; 8-byte Folded Spill
	v_add_f64_e32 v[2:3], v[37:38], v[50:51]
	v_mul_f64_e32 v[50:51], s[42:43], v[196:197]
	scratch_store_b64 off, v[2:3], off offset:288 ; 8-byte Folded Spill
	v_add_f64_e32 v[2:3], v[39:40], v[138:139]
	v_add_f64_e64 v[138:139], v[70:71], -v[168:169]
	v_add_f64_e64 v[39:40], v[80:81], -v[114:115]
	s_clause 0x2
	scratch_store_b64 off, v[2:3], off offset:280
	scratch_store_b64 off, v[0:1], off offset:224
	;; [unrolled: 1-line block ×3, first 2 shown]
	v_mul_f64_e32 v[0:1], s[28:29], v[170:171]
	v_mul_f64_e32 v[2:3], s[44:45], v[172:173]
	scratch_store_b64 off, v[6:7], off offset:96 ; 8-byte Folded Spill
	v_mul_f64_e32 v[6:7], s[24:25], v[194:195]
	s_clause 0x2
	scratch_store_b64 off, v[66:67], off offset:168
	scratch_store_b64 off, v[72:73], off offset:208
	;; [unrolled: 1-line block ×3, first 2 shown]
	v_mul_f64_e32 v[21:22], s[20:21], v[39:40]
	v_mul_f64_e32 v[214:215], s[54:55], v[39:40]
	;; [unrolled: 1-line block ×5, first 2 shown]
	s_clause 0x1
	scratch_store_b64 off, v[0:1], off offset:40
	scratch_store_b64 off, v[2:3], off offset:56
	v_fma_f64 v[0:1], v[106:107], s[44:45], v[0:1]
	v_fma_f64 v[13:14], v[110:111], s[58:59], v[2:3]
	v_mul_f64_e32 v[2:3], s[42:43], v[184:185]
	s_clause 0x1
	scratch_store_b64 off, v[56:57], off offset:128
	scratch_store_b64 off, v[6:7], off offset:144
	v_fma_f64 v[37:38], v[158:159], s[36:37], v[21:22]
	v_mul_f64_e32 v[56:57], s[64:65], v[39:40]
	v_add_f64_e32 v[0:1], v[0:1], v[140:141]
	v_add_f64_e32 v[13:14], v[13:14], v[142:143]
	scratch_store_b64 off, v[2:3], off offset:136 ; 8-byte Folded Spill
	v_add_f64_e32 v[0:1], v[15:16], v[0:1]
	v_fma_f64 v[15:16], v[126:127], s[52:53], v[2:3]
	v_mul_f64_e32 v[2:3], s[40:41], v[196:197]
	scratch_store_b64 off, v[68:69], off offset:152 ; 8-byte Folded Spill
	v_mul_f64_e32 v[68:69], s[40:41], v[58:59]
	v_add_f64_e32 v[13:14], v[15:16], v[13:14]
	scratch_store_b64 off, v[2:3], off offset:160 ; 8-byte Folded Spill
	v_fma_f64 v[15:16], v[134:135], s[40:41], v[6:7]
	s_clause 0x3
	scratch_store_b64 off, v[76:77], off offset:264
	scratch_store_b64 off, v[118:119], off offset:240
	;; [unrolled: 1-line block ×4, first 2 shown]
	v_mul_f64_e32 v[116:117], s[36:37], v[172:173]
	v_mul_f64_e32 v[76:77], s[44:45], v[27:28]
	v_mul_f64_e32 v[74:75], s[46:47], v[35:36]
	v_mul_f64_e32 v[118:119], s[36:37], v[27:28]
	v_mul_f64_e32 v[6:7], s[44:45], v[58:59]
	v_add_f64_e32 v[0:1], v[15:16], v[0:1]
	v_fma_f64 v[15:16], v[138:139], s[64:65], v[2:3]
	v_mul_f64_e32 v[2:3], s[30:31], v[35:36]
	s_delay_alu instid0(VALU_DEP_2) | instskip(SKIP_3) | instid1(VALU_DEP_1)
	v_add_f64_e32 v[13:14], v[15:16], v[13:14]
	v_mul_f64_e32 v[15:16], s[22:23], v[226:227]
	scratch_store_b64 off, v[15:16], off offset:192 ; 8-byte Folded Spill
	v_fma_f64 v[15:16], v[146:147], s[38:39], v[15:16]
	v_add_f64_e32 v[15:16], v[15:16], v[0:1]
	v_mul_f64_e32 v[0:1], s[38:39], v[228:229]
	s_delay_alu instid0(VALU_DEP_2)
	v_add_f64_e32 v[15:16], v[37:38], v[15:16]
	scratch_store_b64 off, v[0:1], off offset:200 ; 8-byte Folded Spill
	v_fma_f64 v[0:1], v[150:151], s[54:55], v[0:1]
	v_fma_f64 v[37:38], v[162:163], s[62:63], v[164:165]
	s_clause 0x1
	scratch_store_b64 off, v[80:81], off offset:328
	scratch_store_b64 off, v[114:115], off offset:312
	v_mul_f64_e32 v[114:115], s[60:61], v[182:183]
	s_clause 0x1
	scratch_store_b64 off, v[78:79], off offset:344
	scratch_store_b64 off, v[112:113], off offset:320
	v_mul_f64_e32 v[112:113], s[34:35], v[27:28]
	s_clause 0x2
	scratch_store_b64 off, v[21:22], off offset:256
	scratch_store_b64 off, v[84:85], off offset:384
	;; [unrolled: 1-line block ×3, first 2 shown]
	v_mul_f64_e32 v[108:109], s[12:13], v[170:171]
	s_clause 0x1
	scratch_store_b64 off, v[82:83], off offset:392
	scratch_store_b64 off, v[100:101], off offset:376
	v_mul_f64_e32 v[100:101], s[38:39], v[184:185]
	s_clause 0x1
	scratch_store_b64 off, v[88:89], off offset:416
	scratch_store_b64 off, v[98:99], off offset:400
	;; [unrolled: 4-line block ×3, first 2 shown]
	v_mul_f64_e32 v[96:97], s[46:47], v[196:197]
	v_mul_f64_e32 v[88:89], s[42:43], v[228:229]
	;; [unrolled: 1-line block ×8, first 2 shown]
	scratch_load_b64 v[64:65], off, off offset:360 th:TH_LOAD_LU ; 8-byte Folded Reload
	v_add_f64_e32 v[13:14], v[0:1], v[13:14]
	v_mul_f64_e32 v[0:1], s[52:53], v[29:30]
	v_fma_f64 v[33:34], v[178:179], s[20:21], v[80:81]
	s_delay_alu instid0(VALU_DEP_3) | instskip(SKIP_1) | instid1(VALU_DEP_1)
	v_add_f64_e32 v[13:14], v[37:38], v[13:14]
	v_fma_f64 v[37:38], v[174:175], s[34:35], v[176:177]
	v_add_f64_e32 v[15:16], v[37:38], v[15:16]
	v_fma_f64 v[37:38], v[178:179], s[56:57], v[180:181]
	s_delay_alu instid0(VALU_DEP_1) | instskip(SKIP_1) | instid1(VALU_DEP_1)
	v_add_f64_e32 v[13:14], v[37:38], v[13:14]
	v_fma_f64 v[37:38], v[186:187], s[30:31], v[188:189]
	v_add_f64_e32 v[140:141], v[37:38], v[15:16]
	v_fma_f64 v[15:16], v[190:191], s[60:61], v[192:193]
	v_fma_f64 v[37:38], v[122:123], s[36:37], v[128:129]
	s_delay_alu instid0(VALU_DEP_2) | instskip(SKIP_2) | instid1(VALU_DEP_2)
	v_add_f64_e32 v[142:143], v[15:16], v[13:14]
	v_fma_f64 v[13:14], v[106:107], s[40:41], v[132:133]
	v_fma_f64 v[15:16], v[110:111], s[64:65], v[130:131]
	v_add_f64_e32 v[13:14], v[13:14], v[102:103]
	s_delay_alu instid0(VALU_DEP_2) | instskip(SKIP_2) | instid1(VALU_DEP_4)
	v_add_f64_e32 v[15:16], v[15:16], v[54:55]
	v_mul_f64_e32 v[102:103], s[54:55], v[182:183]
	v_mul_f64_e32 v[54:55], s[30:31], v[228:229]
	v_add_f64_e32 v[13:14], v[37:38], v[13:14]
	v_fma_f64 v[37:38], v[126:127], s[62:63], v[124:125]
	s_delay_alu instid0(VALU_DEP_1) | instskip(SKIP_1) | instid1(VALU_DEP_1)
	v_add_f64_e32 v[15:16], v[37:38], v[15:16]
	v_fma_f64 v[37:38], v[134:135], s[30:31], v[120:121]
	v_add_f64_e32 v[13:14], v[37:38], v[13:14]
	v_fma_f64 v[37:38], v[138:139], s[60:61], v[160:161]
	s_delay_alu instid0(VALU_DEP_1) | instskip(SKIP_1) | instid1(VALU_DEP_1)
	v_add_f64_e32 v[15:16], v[37:38], v[15:16]
	v_fma_f64 v[37:38], v[146:147], s[34:35], v[210:211]
	;; [unrolled: 5-line block ×5, first 2 shown]
	v_add_f64_e32 v[206:207], v[37:38], v[13:14]
	v_fma_f64 v[13:14], v[190:191], s[48:49], v[224:225]
	v_mul_f64_e32 v[37:38], s[56:57], v[170:171]
	s_delay_alu instid0(VALU_DEP_2) | instskip(SKIP_1) | instid1(VALU_DEP_1)
	v_add_f64_e32 v[208:209], v[13:14], v[15:16]
	v_fma_f64 v[13:14], v[106:107], s[36:37], v[230:231]
	v_add_f64_e32 v[11:12], v[13:14], v[11:12]
	v_fma_f64 v[13:14], v[110:111], s[62:63], v[116:117]
	s_delay_alu instid0(VALU_DEP_1) | instskip(SKIP_1) | instid1(VALU_DEP_1)
	v_add_f64_e32 v[8:9], v[13:14], v[9:10]
	v_fma_f64 v[13:14], v[122:123], s[30:31], v[114:115]
	v_add_f64_e32 v[10:11], v[13:14], v[11:12]
	v_fma_f64 v[12:13], v[126:127], s[12:13], v[236:237]
	v_mul_f64_e32 v[14:15], s[34:35], v[196:197]
	s_delay_alu instid0(VALU_DEP_2) | instskip(SKIP_1) | instid1(VALU_DEP_1)
	v_add_f64_e32 v[8:9], v[12:13], v[8:9]
	v_fma_f64 v[12:13], v[134:135], s[38:39], v[238:239]
	v_add_f64_e32 v[10:11], v[12:13], v[10:11]
	v_fma_f64 v[12:13], v[138:139], s[22:23], v[240:241]
	s_delay_alu instid0(VALU_DEP_1) | instskip(SKIP_1) | instid1(VALU_DEP_1)
	v_add_f64_e32 v[8:9], v[12:13], v[8:9]
	v_fma_f64 v[12:13], v[146:147], s[44:45], v[242:243]
	v_add_f64_e32 v[10:11], v[12:13], v[10:11]
	v_fma_f64 v[12:13], v[150:151], s[28:29], v[244:245]
	s_delay_alu instid0(VALU_DEP_1) | instskip(SKIP_1) | instid1(VALU_DEP_1)
	;; [unrolled: 5-line block ×4, first 2 shown]
	v_add_f64_e32 v[8:9], v[12:13], v[8:9]
	v_fma_f64 v[12:13], v[186:187], s[34:35], v[254:255]
	v_add_f64_e32 v[232:233], v[12:13], v[10:11]
	v_fma_f64 v[10:11], v[190:191], s[56:57], v[112:113]
	v_fma_f64 v[12:13], v[122:123], s[38:39], v[102:103]
	s_delay_alu instid0(VALU_DEP_2) | instskip(SKIP_2) | instid1(VALU_DEP_2)
	v_add_f64_e32 v[234:235], v[10:11], v[8:9]
	v_fma_f64 v[8:9], v[106:107], s[30:31], v[108:109]
	v_fma_f64 v[10:11], v[110:111], s[60:61], v[104:105]
	v_add_f64_e32 v[8:9], v[8:9], v[156:157]
	s_delay_alu instid0(VALU_DEP_2) | instskip(SKIP_2) | instid1(VALU_DEP_4)
	v_add_f64_e32 v[10:11], v[10:11], v[154:155]
	v_fma_f64 v[154:155], v[162:163], s[56:57], v[84:85]
	v_fma_f64 v[156:157], v[174:175], s[36:37], v[82:83]
	v_add_f64_e32 v[8:9], v[12:13], v[8:9]
	v_fma_f64 v[12:13], v[126:127], s[22:23], v[100:101]
	s_delay_alu instid0(VALU_DEP_1) | instskip(SKIP_1) | instid1(VALU_DEP_1)
	v_add_f64_e32 v[10:11], v[12:13], v[10:11]
	v_fma_f64 v[12:13], v[134:135], s[46:47], v[98:99]
	v_add_f64_e32 v[8:9], v[12:13], v[8:9]
	v_fma_f64 v[12:13], v[138:139], s[48:49], v[96:97]
	s_delay_alu instid0(VALU_DEP_1) | instskip(SKIP_1) | instid1(VALU_DEP_1)
	v_add_f64_e32 v[10:11], v[12:13], v[10:11]
	v_fma_f64 v[12:13], v[146:147], s[42:43], v[90:91]
	v_add_f64_e32 v[8:9], v[12:13], v[8:9]
	v_fma_f64 v[12:13], v[150:151], s[52:53], v[88:89]
	s_delay_alu instid0(VALU_DEP_1) | instskip(SKIP_1) | instid1(VALU_DEP_2)
	v_add_f64_e32 v[10:11], v[12:13], v[10:11]
	v_fma_f64 v[12:13], v[158:159], s[34:35], v[86:87]
	v_add_f64_e32 v[154:155], v[154:155], v[10:11]
	s_delay_alu instid0(VALU_DEP_2) | instskip(SKIP_2) | instid1(VALU_DEP_4)
	v_add_f64_e32 v[8:9], v[12:13], v[8:9]
	v_mul_f64_e32 v[12:13], s[64:65], v[226:227]
	v_mul_f64_e32 v[10:11], s[40:41], v[228:229]
	v_add_f64_e32 v[33:34], v[33:34], v[154:155]
	s_delay_alu instid0(VALU_DEP_4) | instskip(SKIP_2) | instid1(VALU_DEP_2)
	v_add_f64_e32 v[156:157], v[156:157], v[8:9]
	v_fma_f64 v[154:155], v[186:187], s[44:45], v[78:79]
	v_mul_f64_e32 v[8:9], s[28:29], v[39:40]
	v_add_f64_e32 v[154:155], v[154:155], v[156:157]
	v_fma_f64 v[156:157], v[190:191], s[28:29], v[76:77]
	s_delay_alu instid0(VALU_DEP_1) | instskip(SKIP_1) | instid1(VALU_DEP_1)
	v_add_f64_e32 v[156:157], v[156:157], v[33:34]
	v_fma_f64 v[33:34], v[106:107], s[34:35], v[37:38]
	v_add_f64_e32 v[19:20], v[33:34], v[19:20]
	v_fma_f64 v[33:34], v[110:111], s[14:15], v[44:45]
	s_delay_alu instid0(VALU_DEP_1) | instskip(SKIP_1) | instid1(VALU_DEP_1)
	v_add_f64_e32 v[16:17], v[33:34], v[17:18]
	v_fma_f64 v[33:34], v[122:123], s[44:45], v[42:43]
	v_add_f64_e32 v[18:19], v[33:34], v[19:20]
	v_fma_f64 v[33:34], v[126:127], s[28:29], v[48:49]
	v_mul_f64_e32 v[20:21], s[46:47], v[184:185]
	s_delay_alu instid0(VALU_DEP_2) | instskip(SKIP_1) | instid1(VALU_DEP_1)
	v_add_f64_e32 v[16:17], v[33:34], v[16:17]
	v_fma_f64 v[33:34], v[134:135], s[42:43], v[46:47]
	v_add_f64_e32 v[18:19], v[33:34], v[18:19]
	v_fma_f64 v[33:34], v[138:139], s[52:53], v[50:51]
	s_delay_alu instid0(VALU_DEP_1) | instskip(SKIP_1) | instid1(VALU_DEP_1)
	v_add_f64_e32 v[16:17], v[33:34], v[16:17]
	v_fma_f64 v[33:34], v[146:147], s[30:31], v[52:53]
	v_add_f64_e32 v[18:19], v[33:34], v[18:19]
	v_fma_f64 v[33:34], v[150:151], s[60:61], v[54:55]
	s_delay_alu instid0(VALU_DEP_1) | instskip(SKIP_1) | instid1(VALU_DEP_1)
	;; [unrolled: 5-line block ×4, first 2 shown]
	v_add_f64_e32 v[16:17], v[32:33], v[16:17]
	v_fma_f64 v[32:33], v[186:187], s[36:37], v[72:73]
	v_add_f64_e32 v[198:199], v[32:33], v[18:19]
	v_fma_f64 v[18:19], v[190:191], s[62:63], v[118:119]
	v_mul_f64_e32 v[32:33], s[38:39], v[172:173]
	s_delay_alu instid0(VALU_DEP_2) | instskip(SKIP_1) | instid1(VALU_DEP_3)
	v_add_f64_e32 v[200:201], v[18:19], v[16:17]
	v_fma_f64 v[18:19], v[106:107], s[38:39], v[22:23]
	v_fma_f64 v[92:93], v[110:111], s[22:23], v[32:33]
	v_mul_f64_e32 v[16:17], s[14:15], v[194:195]
	v_fma_f64 v[22:23], v[106:107], s[38:39], -v[22:23]
	v_fma_f64 v[31:32], v[110:111], s[54:55], v[32:33]
	v_add_f64_e32 v[18:19], v[18:19], v[94:95]
	v_mul_f64_e32 v[94:95], s[48:49], v[182:183]
	v_add_f64_e32 v[92:93], v[92:93], v[202:203]
	s_wait_loadcnt 0x0
	v_add_f64_e32 v[22:23], v[22:23], v[64:65]
	v_add_f64_e32 v[31:32], v[31:32], v[24:25]
	v_mul_f64_e32 v[24:25], s[52:53], v[170:171]
	v_fma_f64 v[202:203], v[122:123], s[46:47], v[94:95]
	v_fma_f64 v[33:34], v[122:123], s[46:47], -v[94:95]
	s_delay_alu instid0(VALU_DEP_2) | instskip(SKIP_1) | instid1(VALU_DEP_3)
	v_add_f64_e32 v[18:19], v[202:203], v[18:19]
	v_fma_f64 v[202:203], v[126:127], s[50:51], v[20:21]
	v_add_f64_e32 v[22:23], v[33:34], v[22:23]
	v_fma_f64 v[20:21], v[126:127], s[48:49], v[20:21]
	v_mul_f64_e32 v[33:34], s[30:31], v[58:59]
	s_delay_alu instid0(VALU_DEP_4) | instskip(SKIP_4) | instid1(VALU_DEP_4)
	v_add_f64_e32 v[92:93], v[202:203], v[92:93]
	v_fma_f64 v[202:203], v[134:135], s[34:35], v[16:17]
	v_fma_f64 v[16:17], v[134:135], s[34:35], -v[16:17]
	v_add_f64_e32 v[20:21], v[20:21], v[31:32]
	v_mul_f64_e32 v[31:32], s[12:13], v[39:40]
	v_add_f64_e32 v[18:19], v[202:203], v[18:19]
	v_fma_f64 v[202:203], v[138:139], s[56:57], v[14:15]
	v_add_f64_e32 v[16:17], v[16:17], v[22:23]
	v_fma_f64 v[14:15], v[138:139], s[14:15], v[14:15]
	v_mul_f64_e32 v[22:23], s[46:47], v[228:229]
	s_delay_alu instid0(VALU_DEP_4) | instskip(SKIP_4) | instid1(VALU_DEP_4)
	v_add_f64_e32 v[92:93], v[202:203], v[92:93]
	v_fma_f64 v[202:203], v[146:147], s[40:41], v[12:13]
	v_fma_f64 v[12:13], v[146:147], s[40:41], -v[12:13]
	v_add_f64_e32 v[14:15], v[14:15], v[20:21]
	v_mul_f64_e32 v[20:21], s[48:49], v[226:227]
	v_add_f64_e32 v[18:19], v[202:203], v[18:19]
	v_fma_f64 v[202:203], v[150:151], s[24:25], v[10:11]
	v_add_f64_e32 v[12:13], v[12:13], v[16:17]
	v_fma_f64 v[10:11], v[150:151], s[64:65], v[10:11]
	s_delay_alu instid0(VALU_DEP_3) | instskip(SKIP_2) | instid1(VALU_DEP_4)
	v_add_f64_e32 v[92:93], v[202:203], v[92:93]
	v_fma_f64 v[202:203], v[158:159], s[44:45], v[8:9]
	v_fma_f64 v[8:9], v[158:159], s[44:45], -v[8:9]
	v_add_f64_e32 v[10:11], v[10:11], v[14:15]
	s_delay_alu instid0(VALU_DEP_3) | instskip(SKIP_1) | instid1(VALU_DEP_4)
	v_add_f64_e32 v[18:19], v[202:203], v[18:19]
	v_fma_f64 v[202:203], v[162:163], s[58:59], v[6:7]
	v_add_f64_e32 v[8:9], v[8:9], v[12:13]
	v_fma_f64 v[6:7], v[162:163], s[28:29], v[6:7]
	s_delay_alu instid0(VALU_DEP_3) | instskip(SKIP_2) | instid1(VALU_DEP_4)
	v_add_f64_e32 v[92:93], v[202:203], v[92:93]
	v_fma_f64 v[202:203], v[174:175], s[30:31], v[4:5]
	v_fma_f64 v[4:5], v[174:175], s[30:31], -v[4:5]
	v_add_f64_e32 v[6:7], v[6:7], v[10:11]
	s_delay_alu instid0(VALU_DEP_3) | instskip(SKIP_1) | instid1(VALU_DEP_4)
	v_add_f64_e32 v[18:19], v[202:203], v[18:19]
	v_fma_f64 v[202:203], v[178:179], s[60:61], v[2:3]
	v_add_f64_e32 v[4:5], v[4:5], v[8:9]
	v_fma_f64 v[2:3], v[178:179], s[12:13], v[2:3]
	v_mul_f64_e32 v[8:9], s[24:25], v[182:183]
	s_delay_alu instid0(VALU_DEP_4)
	v_add_f64_e32 v[92:93], v[202:203], v[92:93]
	v_fma_f64 v[202:203], v[186:187], s[42:43], v[0:1]
	v_fma_f64 v[0:1], v[186:187], s[42:43], -v[0:1]
	v_add_f64_e32 v[2:3], v[2:3], v[6:7]
	v_fma_f64 v[10:11], v[122:123], s[40:41], v[8:9]
	v_fma_f64 v[8:9], v[122:123], s[40:41], -v[8:9]
	v_add_f64_e32 v[202:203], v[202:203], v[18:19]
	v_mul_f64_e32 v[18:19], s[42:43], v[27:28]
	s_delay_alu instid0(VALU_DEP_1) | instskip(SKIP_2) | instid1(VALU_DEP_3)
	v_fma_f64 v[204:205], v[190:191], s[26:27], v[18:19]
	v_fma_f64 v[6:7], v[190:191], s[52:53], v[18:19]
	v_mul_f64_e32 v[18:19], s[42:43], v[172:173]
	v_add_f64_e32 v[204:205], v[204:205], v[92:93]
	v_add_f64_e32 v[92:93], v[0:1], v[4:5]
	scratch_load_b64 v[0:1], off, off offset:352 th:TH_LOAD_LU ; 8-byte Folded Reload
	v_add_f64_e32 v[94:95], v[6:7], v[2:3]
	v_fma_f64 v[2:3], v[106:107], s[42:43], v[24:25]
	v_fma_f64 v[6:7], v[110:111], s[26:27], v[18:19]
	v_mul_f64_e32 v[4:5], s[58:59], v[60:61]
	v_fma_f64 v[18:19], v[110:111], s[52:53], v[18:19]
	s_wait_loadcnt 0x0
	s_delay_alu instid0(VALU_DEP_4) | instskip(SKIP_3) | instid1(VALU_DEP_1)
	v_add_f64_e32 v[2:3], v[2:3], v[0:1]
	scratch_load_b64 v[0:1], off, off offset:336 th:TH_LOAD_LU ; 8-byte Folded Reload
	v_add_f64_e32 v[2:3], v[10:11], v[2:3]
	v_mul_f64_e32 v[10:11], s[40:41], v[184:185]
	v_fma_f64 v[12:13], v[126:127], s[64:65], v[10:11]
	s_wait_loadcnt 0x0
	v_add_f64_e32 v[6:7], v[6:7], v[0:1]
	v_mul_f64_e32 v[0:1], s[22:23], v[29:30]
	v_mul_f64_e32 v[29:30], s[64:65], v[29:30]
	s_delay_alu instid0(VALU_DEP_3) | instskip(SKIP_1) | instid1(VALU_DEP_1)
	v_add_f64_e32 v[6:7], v[12:13], v[6:7]
	v_mul_f64_e32 v[12:13], s[62:63], v[194:195]
	v_fma_f64 v[14:15], v[134:135], s[36:37], v[12:13]
	s_delay_alu instid0(VALU_DEP_1) | instskip(SKIP_1) | instid1(VALU_DEP_1)
	v_add_f64_e32 v[2:3], v[14:15], v[2:3]
	v_mul_f64_e32 v[14:15], s[36:37], v[196:197]
	v_fma_f64 v[16:17], v[138:139], s[20:21], v[14:15]
	s_delay_alu instid0(VALU_DEP_1) | instskip(SKIP_1) | instid1(VALU_DEP_1)
	v_add_f64_e32 v[6:7], v[16:17], v[6:7]
	v_fma_f64 v[16:17], v[146:147], s[46:47], v[20:21]
	v_add_f64_e32 v[2:3], v[16:17], v[2:3]
	v_fma_f64 v[16:17], v[150:151], s[50:51], v[22:23]
	s_delay_alu instid0(VALU_DEP_1) | instskip(SKIP_1) | instid1(VALU_DEP_1)
	v_add_f64_e32 v[6:7], v[16:17], v[6:7]
	v_fma_f64 v[16:17], v[158:159], s[30:31], v[31:32]
	v_add_f64_e32 v[2:3], v[16:17], v[2:3]
	v_fma_f64 v[16:17], v[162:163], s[60:61], v[33:34]
	s_delay_alu instid0(VALU_DEP_1) | instskip(SKIP_2) | instid1(VALU_DEP_2)
	v_add_f64_e32 v[6:7], v[16:17], v[6:7]
	v_fma_f64 v[16:17], v[174:175], s[44:45], v[4:5]
	v_fma_f64 v[4:5], v[174:175], s[44:45], -v[4:5]
	v_add_f64_e32 v[2:3], v[16:17], v[2:3]
	v_mul_f64_e32 v[16:17], s[44:45], v[35:36]
	v_mul_f64_e32 v[35:36], s[38:39], v[35:36]
	s_delay_alu instid0(VALU_DEP_2) | instskip(NEXT) | instid1(VALU_DEP_1)
	v_fma_f64 v[64:65], v[178:179], s[28:29], v[16:17]
	v_add_f64_e32 v[6:7], v[64:65], v[6:7]
	v_fma_f64 v[64:65], v[186:187], s[38:39], v[0:1]
	v_fma_f64 v[0:1], v[186:187], s[38:39], -v[0:1]
	s_delay_alu instid0(VALU_DEP_2) | instskip(SKIP_2) | instid1(VALU_DEP_2)
	v_add_f64_e32 v[64:65], v[64:65], v[2:3]
	v_mul_f64_e32 v[2:3], s[38:39], v[27:28]
	v_mul_f64_e32 v[26:27], s[40:41], v[27:28]
	v_fma_f64 v[66:67], v[190:191], s[54:55], v[2:3]
	v_fma_f64 v[2:3], v[190:191], s[22:23], v[2:3]
	s_delay_alu instid0(VALU_DEP_2)
	v_add_f64_e32 v[66:67], v[66:67], v[6:7]
	v_fma_f64 v[6:7], v[106:107], s[42:43], -v[24:25]
	scratch_load_b64 v[24:25], off, off offset:304 th:TH_LOAD_LU ; 8-byte Folded Reload
	s_wait_loadcnt 0x0
	v_add_f64_e32 v[6:7], v[6:7], v[24:25]
	scratch_load_b64 v[24:25], off, off offset:296 th:TH_LOAD_LU ; 8-byte Folded Reload
	v_add_f64_e32 v[6:7], v[8:9], v[6:7]
	v_fma_f64 v[8:9], v[126:127], s[24:25], v[10:11]
	v_fma_f64 v[10:11], v[134:135], s[36:37], -v[12:13]
	s_delay_alu instid0(VALU_DEP_1) | instskip(SKIP_3) | instid1(VALU_DEP_1)
	v_add_f64_e32 v[6:7], v[10:11], v[6:7]
	v_fma_f64 v[10:11], v[138:139], s[62:63], v[14:15]
	s_wait_loadcnt 0x0
	v_add_f64_e32 v[18:19], v[18:19], v[24:25]
	v_add_f64_e32 v[8:9], v[8:9], v[18:19]
	s_delay_alu instid0(VALU_DEP_1) | instskip(SKIP_1) | instid1(VALU_DEP_1)
	v_add_f64_e32 v[8:9], v[10:11], v[8:9]
	v_fma_f64 v[10:11], v[146:147], s[46:47], -v[20:21]
	v_add_f64_e32 v[6:7], v[10:11], v[6:7]
	v_fma_f64 v[10:11], v[150:151], s[48:49], v[22:23]
	s_delay_alu instid0(VALU_DEP_1) | instskip(SKIP_1) | instid1(VALU_DEP_1)
	v_add_f64_e32 v[8:9], v[10:11], v[8:9]
	v_fma_f64 v[10:11], v[158:159], s[30:31], -v[31:32]
	v_add_f64_e32 v[6:7], v[10:11], v[6:7]
	v_fma_f64 v[10:11], v[162:163], s[12:13], v[33:34]
	s_delay_alu instid0(VALU_DEP_2) | instskip(NEXT) | instid1(VALU_DEP_2)
	v_add_f64_e32 v[4:5], v[4:5], v[6:7]
	v_add_f64_e32 v[8:9], v[10:11], v[8:9]
	v_fma_f64 v[6:7], v[178:179], s[58:59], v[16:17]
	s_delay_alu instid0(VALU_DEP_3)
	v_add_f64_e32 v[31:32], v[0:1], v[4:5]
	scratch_load_b64 v[4:5], off, off offset:288 th:TH_LOAD_LU ; 8-byte Folded Reload
	v_add_f64_e32 v[6:7], v[6:7], v[8:9]
	scratch_load_b64 v[8:9], off, off offset:280 th:TH_LOAD_LU ; 8-byte Folded Reload
	v_mul_f64_e32 v[0:1], s[50:51], v[170:171]
	v_add_f64_e32 v[33:34], v[2:3], v[6:7]
	s_delay_alu instid0(VALU_DEP_2) | instskip(SKIP_2) | instid1(VALU_DEP_2)
	v_fma_f64 v[2:3], v[106:107], s[46:47], v[0:1]
	v_fma_f64 v[0:1], v[106:107], s[46:47], -v[0:1]
	s_wait_loadcnt 0x1
	v_add_f64_e32 v[2:3], v[2:3], v[4:5]
	v_mul_f64_e32 v[4:5], s[46:47], v[172:173]
	s_delay_alu instid0(VALU_DEP_1) | instskip(SKIP_1) | instid1(VALU_DEP_1)
	v_fma_f64 v[6:7], v[110:111], s[48:49], v[4:5]
	s_wait_loadcnt 0x0
	v_add_f64_e32 v[6:7], v[6:7], v[8:9]
	v_mul_f64_e32 v[8:9], s[14:15], v[182:183]
	s_delay_alu instid0(VALU_DEP_1) | instskip(NEXT) | instid1(VALU_DEP_1)
	v_fma_f64 v[10:11], v[122:123], s[34:35], v[8:9]
	v_add_f64_e32 v[2:3], v[10:11], v[2:3]
	v_mul_f64_e32 v[10:11], s[34:35], v[184:185]
	s_delay_alu instid0(VALU_DEP_1) | instskip(NEXT) | instid1(VALU_DEP_1)
	v_fma_f64 v[12:13], v[126:127], s[56:57], v[10:11]
	;; [unrolled: 4-line block ×9, first 2 shown]
	v_add_f64_e32 v[2:3], v[39:40], v[2:3]
	v_fma_f64 v[39:40], v[178:179], s[54:55], v[35:36]
	s_delay_alu instid0(VALU_DEP_1) | instskip(SKIP_1) | instid1(VALU_DEP_1)
	v_add_f64_e32 v[6:7], v[39:40], v[6:7]
	v_fma_f64 v[39:40], v[186:187], s[40:41], v[29:30]
	v_add_f64_e32 v[58:59], v[39:40], v[2:3]
	v_fma_f64 v[2:3], v[190:191], s[24:25], v[26:27]
	s_delay_alu instid0(VALU_DEP_1)
	v_add_f64_e32 v[60:61], v[2:3], v[6:7]
	scratch_load_b64 v[2:3], off, off offset:232 th:TH_LOAD_LU ; 8-byte Folded Reload
	v_fma_f64 v[6:7], v[190:191], s[64:65], v[26:27]
	s_wait_loadcnt 0x0
	v_add_f64_e32 v[0:1], v[0:1], v[2:3]
	v_fma_f64 v[2:3], v[110:111], s[50:51], v[4:5]
	scratch_load_b64 v[4:5], off, off offset:224 th:TH_LOAD_LU ; 8-byte Folded Reload
	s_wait_loadcnt 0x0
	v_add_f64_e32 v[2:3], v[2:3], v[4:5]
	v_fma_f64 v[4:5], v[122:123], s[34:35], -v[8:9]
	s_delay_alu instid0(VALU_DEP_1) | instskip(SKIP_1) | instid1(VALU_DEP_1)
	v_add_f64_e32 v[0:1], v[4:5], v[0:1]
	v_fma_f64 v[4:5], v[126:127], s[14:15], v[10:11]
	v_add_f64_e32 v[2:3], v[4:5], v[2:3]
	v_fma_f64 v[4:5], v[134:135], s[44:45], -v[12:13]
	s_delay_alu instid0(VALU_DEP_1) | instskip(SKIP_2) | instid1(VALU_DEP_2)
	v_add_f64_e32 v[0:1], v[4:5], v[0:1]
	v_fma_f64 v[4:5], v[138:139], s[58:59], v[14:15]
	v_fma_f64 v[14:15], v[190:191], s[14:15], v[112:113]
	v_add_f64_e32 v[2:3], v[4:5], v[2:3]
	v_fma_f64 v[4:5], v[146:147], s[36:37], -v[16:17]
	s_delay_alu instid0(VALU_DEP_1) | instskip(SKIP_2) | instid1(VALU_DEP_2)
	v_add_f64_e32 v[0:1], v[4:5], v[0:1]
	v_fma_f64 v[4:5], v[150:151], s[20:21], v[18:19]
	v_fma_f64 v[18:19], v[190:191], s[50:51], v[224:225]
	v_add_f64_e32 v[2:3], v[4:5], v[2:3]
	v_fma_f64 v[4:5], v[158:159], s[42:43], -v[20:21]
	s_delay_alu instid0(VALU_DEP_1) | instskip(SKIP_1) | instid1(VALU_DEP_1)
	v_add_f64_e32 v[0:1], v[4:5], v[0:1]
	v_fma_f64 v[4:5], v[162:163], s[52:53], v[22:23]
	v_add_f64_e32 v[2:3], v[4:5], v[2:3]
	v_fma_f64 v[4:5], v[174:175], s[38:39], -v[24:25]
	s_delay_alu instid0(VALU_DEP_1) | instskip(SKIP_1) | instid1(VALU_DEP_1)
	v_add_f64_e32 v[0:1], v[4:5], v[0:1]
	v_fma_f64 v[4:5], v[178:179], s[22:23], v[35:36]
	v_add_f64_e32 v[2:3], v[4:5], v[2:3]
	v_fma_f64 v[4:5], v[186:187], s[40:41], -v[29:30]
	s_delay_alu instid0(VALU_DEP_2)
	v_add_f64_e32 v[172:173], v[6:7], v[2:3]
	scratch_load_b64 v[2:3], off, off offset:184 th:TH_LOAD_LU ; 8-byte Folded Reload
	v_add_f64_e32 v[170:171], v[4:5], v[0:1]
	scratch_load_b64 v[4:5], off, off offset:176 th:TH_LOAD_LU ; 8-byte Folded Reload
	v_fma_f64 v[0:1], v[106:107], s[34:35], -v[37:38]
	v_fma_f64 v[6:7], v[190:191], s[20:21], v[118:119]
	s_wait_loadcnt 0x1
	s_delay_alu instid0(VALU_DEP_2) | instskip(SKIP_2) | instid1(VALU_DEP_1)
	v_add_f64_e32 v[0:1], v[0:1], v[2:3]
	v_fma_f64 v[2:3], v[110:111], s[56:57], v[44:45]
	s_wait_loadcnt 0x0
	v_add_f64_e32 v[2:3], v[2:3], v[4:5]
	v_fma_f64 v[4:5], v[122:123], s[44:45], -v[42:43]
	s_delay_alu instid0(VALU_DEP_1) | instskip(SKIP_1) | instid1(VALU_DEP_1)
	v_add_f64_e32 v[0:1], v[4:5], v[0:1]
	v_fma_f64 v[4:5], v[126:127], s[58:59], v[48:49]
	v_add_f64_e32 v[2:3], v[4:5], v[2:3]
	v_fma_f64 v[4:5], v[134:135], s[42:43], -v[46:47]
	s_delay_alu instid0(VALU_DEP_1) | instskip(SKIP_1) | instid1(VALU_DEP_1)
	v_add_f64_e32 v[0:1], v[4:5], v[0:1]
	v_fma_f64 v[4:5], v[138:139], s[26:27], v[50:51]
	;; [unrolled: 5-line block ×5, first 2 shown]
	v_add_f64_e32 v[2:3], v[4:5], v[2:3]
	v_fma_f64 v[4:5], v[186:187], s[36:37], -v[72:73]
	s_delay_alu instid0(VALU_DEP_2)
	v_add_f64_e32 v[184:185], v[6:7], v[2:3]
	scratch_load_b64 v[2:3], off, off offset:120 th:TH_LOAD_LU ; 8-byte Folded Reload
	v_add_f64_e32 v[182:183], v[4:5], v[0:1]
	scratch_load_b64 v[4:5], off, off offset:112 th:TH_LOAD_LU ; 8-byte Folded Reload
	v_fma_f64 v[0:1], v[106:107], s[30:31], -v[108:109]
	v_fma_f64 v[6:7], v[190:191], s[58:59], v[76:77]
	s_wait_loadcnt 0x1
	s_delay_alu instid0(VALU_DEP_2) | instskip(SKIP_2) | instid1(VALU_DEP_1)
	v_add_f64_e32 v[0:1], v[0:1], v[2:3]
	v_fma_f64 v[2:3], v[110:111], s[12:13], v[104:105]
	s_wait_loadcnt 0x0
	v_add_f64_e32 v[2:3], v[2:3], v[4:5]
	v_fma_f64 v[4:5], v[122:123], s[38:39], -v[102:103]
	s_delay_alu instid0(VALU_DEP_1) | instskip(SKIP_1) | instid1(VALU_DEP_1)
	v_add_f64_e32 v[0:1], v[4:5], v[0:1]
	v_fma_f64 v[4:5], v[126:127], s[54:55], v[100:101]
	v_add_f64_e32 v[2:3], v[4:5], v[2:3]
	v_fma_f64 v[4:5], v[134:135], s[46:47], -v[98:99]
	s_delay_alu instid0(VALU_DEP_1) | instskip(SKIP_1) | instid1(VALU_DEP_1)
	v_add_f64_e32 v[0:1], v[4:5], v[0:1]
	v_fma_f64 v[4:5], v[138:139], s[50:51], v[96:97]
	;; [unrolled: 5-line block ×5, first 2 shown]
	v_add_f64_e32 v[2:3], v[4:5], v[2:3]
	v_fma_f64 v[4:5], v[186:187], s[44:45], -v[78:79]
	s_delay_alu instid0(VALU_DEP_2) | instskip(NEXT) | instid1(VALU_DEP_2)
	v_add_f64_e32 v[2:3], v[6:7], v[2:3]
	v_add_f64_e32 v[0:1], v[4:5], v[0:1]
	s_clause 0x1
	scratch_load_b64 v[4:5], off, off offset:80 th:TH_LOAD_LU
	scratch_load_b64 v[6:7], off, off offset:128 th:TH_LOAD_LU
	s_wait_loadcnt 0x0
	v_add_f64_e32 v[4:5], v[4:5], v[6:7]
	s_clause 0x8
	scratch_load_b64 v[6:7], off, off offset:88 th:TH_LOAD_LU
	scratch_load_b64 v[8:9], off, off offset:104 th:TH_LOAD_LU
	;; [unrolled: 1-line block ×5, first 2 shown]
	scratch_load_b64 v[24:25], off, off th:TH_LOAD_LU
	scratch_load_b64 v[20:21], off, off offset:96 th:TH_LOAD_LU
	scratch_load_b64 v[22:23], off, off offset:136 th:TH_LOAD_LU
	;; [unrolled: 1-line block ×3, first 2 shown]
	s_wait_loadcnt 0x7
	v_add_f64_e32 v[6:7], v[6:7], v[8:9]
	scratch_load_b64 v[8:9], off, off offset:168 th:TH_LOAD_LU ; 8-byte Folded Reload
	s_wait_loadcnt 0x3
	v_fma_f64 v[20:21], v[122:123], s[42:43], -v[20:21]
	s_wait_loadcnt 0x2
	v_fma_f64 v[22:23], v[126:127], s[26:27], v[22:23]
	s_wait_loadcnt 0x1
	v_fma_f64 v[26:27], v[138:139], s[24:25], v[26:27]
	s_wait_loadcnt 0x0
	v_add_f64_e32 v[4:5], v[4:5], v[8:9]
	scratch_load_b64 v[8:9], off, off offset:152 th:TH_LOAD_LU ; 8-byte Folded Reload
	s_wait_loadcnt 0x0
	v_add_f64_e32 v[6:7], v[6:7], v[8:9]
	scratch_load_b64 v[8:9], off, off offset:216 th:TH_LOAD_LU ; 8-byte Folded Reload
	;; [unrolled: 3-line block ×19, first 2 shown]
	v_add_f64_e32 v[4:5], v[4:5], v[168:169]
	s_delay_alu instid0(VALU_DEP_1) | instskip(NEXT) | instid1(VALU_DEP_1)
	v_add_f64_e32 v[4:5], v[4:5], v[152:153]
	v_add_f64_e32 v[4:5], v[4:5], v[144:145]
	s_wait_loadcnt 0x0
	v_add_f64_e32 v[6:7], v[6:7], v[8:9]
	scratch_load_b64 v[8:9], off, off offset:48 th:TH_LOAD_LU ; 8-byte Folded Reload
	v_add_f64_e32 v[6:7], v[6:7], v[166:167]
	s_delay_alu instid0(VALU_DEP_1) | instskip(NEXT) | instid1(VALU_DEP_1)
	v_add_f64_e32 v[6:7], v[6:7], v[148:149]
	v_add_f64_e32 v[6:7], v[6:7], v[136:137]
	s_wait_loadcnt 0x0
	v_add_f64_e32 v[4:5], v[4:5], v[8:9]
	scratch_load_b64 v[8:9], off, off offset:16 th:TH_LOAD_LU ; 8-byte Folded Reload
	s_wait_loadcnt 0x0
	v_add_f64_e32 v[6:7], v[6:7], v[8:9]
	v_fma_f64 v[8:9], v[106:107], s[36:37], -v[230:231]
	s_delay_alu instid0(VALU_DEP_1) | instskip(SKIP_1) | instid1(VALU_DEP_1)
	v_add_f64_e32 v[8:9], v[8:9], v[10:11]
	v_fma_f64 v[10:11], v[110:111], s[20:21], v[116:117]
	v_add_f64_e32 v[10:11], v[10:11], v[12:13]
	v_fma_f64 v[12:13], v[122:123], s[30:31], -v[114:115]
	s_delay_alu instid0(VALU_DEP_1) | instskip(SKIP_1) | instid1(VALU_DEP_1)
	v_add_f64_e32 v[8:9], v[12:13], v[8:9]
	v_fma_f64 v[12:13], v[126:127], s[60:61], v[236:237]
	;; [unrolled: 5-line block ×6, first 2 shown]
	v_add_f64_e32 v[10:11], v[12:13], v[10:11]
	v_fma_f64 v[12:13], v[186:187], s[34:35], -v[254:255]
	s_delay_alu instid0(VALU_DEP_2) | instskip(SKIP_4) | instid1(VALU_DEP_1)
	v_add_f64_e32 v[10:11], v[14:15], v[10:11]
	scratch_load_b64 v[14:15], off, off offset:32 th:TH_LOAD_LU ; 8-byte Folded Reload
	v_add_f64_e32 v[8:9], v[12:13], v[8:9]
	v_fma_f64 v[12:13], v[106:107], s[40:41], -v[132:133]
	s_wait_loadcnt 0x0
	v_add_f64_e32 v[12:13], v[12:13], v[14:15]
	v_fma_f64 v[14:15], v[110:111], s[24:25], v[130:131]
	s_delay_alu instid0(VALU_DEP_1) | instskip(SKIP_1) | instid1(VALU_DEP_1)
	v_add_f64_e32 v[14:15], v[14:15], v[16:17]
	v_fma_f64 v[16:17], v[122:123], s[36:37], -v[128:129]
	v_add_f64_e32 v[12:13], v[16:17], v[12:13]
	v_fma_f64 v[16:17], v[126:127], s[20:21], v[124:125]
	s_delay_alu instid0(VALU_DEP_1) | instskip(SKIP_1) | instid1(VALU_DEP_1)
	v_add_f64_e32 v[14:15], v[16:17], v[14:15]
	v_fma_f64 v[16:17], v[134:135], s[30:31], -v[120:121]
	;; [unrolled: 5-line block ×5, first 2 shown]
	v_add_f64_e32 v[12:13], v[16:17], v[12:13]
	v_fma_f64 v[16:17], v[178:179], s[52:53], v[220:221]
	s_delay_alu instid0(VALU_DEP_1) | instskip(SKIP_1) | instid1(VALU_DEP_2)
	v_add_f64_e32 v[14:15], v[16:17], v[14:15]
	v_fma_f64 v[16:17], v[186:187], s[46:47], -v[222:223]
	v_add_f64_e32 v[14:15], v[18:19], v[14:15]
	s_delay_alu instid0(VALU_DEP_2)
	v_add_f64_e32 v[12:13], v[16:17], v[12:13]
	s_clause 0x1
	scratch_load_b64 v[16:17], off, off offset:40 th:TH_LOAD_LU
	scratch_load_b64 v[18:19], off, off offset:56 th:TH_LOAD_LU
	s_wait_loadcnt 0x1
	v_fma_f64 v[16:17], v[106:107], s[44:45], -v[16:17]
	s_delay_alu instid0(VALU_DEP_1)
	v_add_f64_e32 v[16:17], v[16:17], v[24:25]
	scratch_load_b64 v[24:25], off, off offset:8 th:TH_LOAD_LU ; 8-byte Folded Reload
	s_wait_loadcnt 0x1
	v_fma_f64 v[18:19], v[110:111], s[28:29], v[18:19]
	v_add_f64_e32 v[16:17], v[20:21], v[16:17]
	scratch_load_b64 v[20:21], off, off offset:192 th:TH_LOAD_LU ; 8-byte Folded Reload
	s_wait_loadcnt 0x1
	v_add_f64_e32 v[18:19], v[18:19], v[24:25]
	scratch_load_b64 v[24:25], off, off offset:144 th:TH_LOAD_LU ; 8-byte Folded Reload
	v_add_f64_e32 v[18:19], v[22:23], v[18:19]
	scratch_load_b64 v[22:23], off, off offset:200 th:TH_LOAD_LU ; 8-byte Folded Reload
	s_wait_loadcnt 0x2
	v_fma_f64 v[20:21], v[146:147], s[38:39], -v[20:21]
	v_add_f64_e32 v[18:19], v[26:27], v[18:19]
	s_wait_loadcnt 0x1
	v_fma_f64 v[24:25], v[134:135], s[40:41], -v[24:25]
	s_delay_alu instid0(VALU_DEP_1) | instskip(SKIP_2) | instid1(VALU_DEP_2)
	v_add_f64_e32 v[16:17], v[24:25], v[16:17]
	s_wait_loadcnt 0x0
	v_fma_f64 v[22:23], v[150:151], s[22:23], v[22:23]
	v_add_f64_e32 v[16:17], v[20:21], v[16:17]
	scratch_load_b64 v[20:21], off, off offset:256 th:TH_LOAD_LU ; 8-byte Folded Reload
	v_add_f64_e32 v[18:19], v[22:23], v[18:19]
	v_fma_f64 v[22:23], v[162:163], s[20:21], v[164:165]
	global_wb scope:SCOPE_SE
	s_wait_loadcnt 0x0
	s_wait_storecnt 0x0
	s_barrier_signal -1
	s_barrier_wait -1
	global_inv scope:SCOPE_SE
	ds_store_b128 v63, v[4:7]
	ds_store_b128 v63, v[140:143] offset:272
	ds_store_b128 v63, v[206:209] offset:544
	;; [unrolled: 1-line block ×7, first 2 shown]
	v_mul_u32_u24_e32 v4, 0x2493, v62
	ds_store_b128 v63, v[58:61] offset:2176
	ds_store_b128 v63, v[170:173] offset:2448
	;; [unrolled: 1-line block ×8, first 2 shown]
	v_lshrrev_b32_e32 v4, 16, v4
	s_delay_alu instid0(VALU_DEP_1) | instskip(SKIP_1) | instid1(VALU_DEP_2)
	v_mul_lo_u16 v5, v4, 7
	v_lshlrev_b32_e32 v11, 4, v4
	v_sub_nc_u16 v5, v62, v5
	v_add_f64_e32 v[18:19], v[22:23], v[18:19]
	v_fma_f64 v[22:23], v[178:179], s[14:15], v[180:181]
	s_delay_alu instid0(VALU_DEP_1) | instskip(SKIP_1) | instid1(VALU_DEP_1)
	v_add_f64_e32 v[18:19], v[22:23], v[18:19]
	v_fma_f64 v[22:23], v[190:191], s[12:13], v[192:193]
	v_add_f64_e32 v[39:40], v[22:23], v[18:19]
	v_fma_f64 v[20:21], v[158:159], s[36:37], -v[20:21]
	s_delay_alu instid0(VALU_DEP_1) | instskip(SKIP_1) | instid1(VALU_DEP_1)
	v_add_f64_e32 v[16:17], v[20:21], v[16:17]
	v_fma_f64 v[20:21], v[174:175], s[34:35], -v[176:177]
	v_add_f64_e32 v[16:17], v[20:21], v[16:17]
	v_fma_f64 v[20:21], v[186:187], s[30:31], -v[188:189]
	s_delay_alu instid0(VALU_DEP_1) | instskip(SKIP_2) | instid1(VALU_DEP_2)
	v_add_f64_e32 v[37:38], v[20:21], v[16:17]
	v_and_b32_e32 v16, 0xffff, v5
	v_mul_lo_u16 v5, 0x122, v5
	v_mad_co_u64_u32 v[6:7], null, s0, v16, 0
	s_delay_alu instid0(VALU_DEP_2) | instskip(NEXT) | instid1(VALU_DEP_1)
	v_and_b32_e32 v2, 0xffff, v5
	v_lshlrev_b32_e32 v10, 4, v2
	s_delay_alu instid0(VALU_DEP_3) | instskip(NEXT) | instid1(VALU_DEP_1)
	v_mov_b32_e32 v0, v7
	v_mad_co_u64_u32 v[0:1], null, s1, v16, v[0:1]
	s_lshl_b64 s[0:1], s[4:5], 4
	s_lshl_b64 s[4:5], s[6:7], 4
	s_wait_alu 0xfffe
	s_add_nc_u64 s[0:1], s[10:11], s[0:1]
	s_wait_alu 0xfffe
	s_add_nc_u64 s[0:1], s[0:1], s[4:5]
	s_lshl_b64 s[4:5], s[8:9], 4
	v_mov_b32_e32 v7, v0
	v_add3_u32 v0, 0, v10, v11
	s_wait_alu 0xfffe
	s_add_nc_u64 s[0:1], s[0:1], s[4:5]
	ds_store_b128 v63, v[37:40] offset:4352
	v_mul_lo_u32 v40, s3, v4
	global_wb scope:SCOPE_SE
	s_wait_dscnt 0x0
	s_barrier_signal -1
	s_barrier_wait -1
	global_inv scope:SCOPE_SE
	ds_load_b128 v[2:5], v0
	v_lshlrev_b64_e32 v[0:1], 4, v[6:7]
	s_mul_i32 s3, s3, 17
	v_lshlrev_b64_e32 v[6:7], 4, v[40:41]
	s_wait_alu 0xfffe
	v_add_nc_u32_e32 v40, s3, v40
	s_delay_alu instid0(VALU_DEP_3) | instskip(SKIP_2) | instid1(VALU_DEP_3)
	v_add_co_u32 v0, vcc_lo, s0, v0
	s_wait_alu 0xfffd
	v_add_co_ci_u32_e32 v1, vcc_lo, s1, v1, vcc_lo
	v_lshlrev_b64_e32 v[8:9], 4, v[40:41]
	s_delay_alu instid0(VALU_DEP_3) | instskip(SKIP_1) | instid1(VALU_DEP_3)
	v_add_co_u32 v6, vcc_lo, v0, v6
	s_wait_alu 0xfffd
	v_add_co_ci_u32_e32 v7, vcc_lo, v1, v7, vcc_lo
	v_add_nc_u32_e32 v40, s3, v40
	s_delay_alu instid0(VALU_DEP_4)
	v_add_co_u32 v21, vcc_lo, v0, v8
	s_wait_alu 0xfffd
	v_add_co_ci_u32_e32 v22, vcc_lo, v1, v9, vcc_lo
	s_wait_dscnt 0x0
	global_store_b128 v[6:7], v[2:5], off
	v_add3_u32 v2, 0, v11, v10
	v_lshlrev_b64_e32 v[19:20], 4, v[40:41]
	v_add_nc_u32_e32 v40, s3, v40
	ds_load_b128 v[3:6], v2 offset:272
	ds_load_b128 v[7:10], v2 offset:544
	;; [unrolled: 1-line block ×4, first 2 shown]
	v_lshlrev_b64_e32 v[23:24], 4, v[40:41]
	v_add_nc_u32_e32 v40, s3, v40
	v_add_co_u32 v19, vcc_lo, v0, v19
	s_wait_alu 0xfffd
	v_add_co_ci_u32_e32 v20, vcc_lo, v1, v20, vcc_lo
	s_delay_alu instid0(VALU_DEP_3) | instskip(SKIP_4) | instid1(VALU_DEP_4)
	v_lshlrev_b64_e32 v[25:26], 4, v[40:41]
	v_add_nc_u32_e32 v40, s3, v40
	v_add_co_u32 v23, vcc_lo, v0, v23
	s_wait_alu 0xfffd
	v_add_co_ci_u32_e32 v24, vcc_lo, v1, v24, vcc_lo
	v_add_co_u32 v25, vcc_lo, v0, v25
	v_lshlrev_b64_e32 v[27:28], 4, v[40:41]
	v_add_nc_u32_e32 v40, s3, v40
	s_wait_alu 0xfffd
	v_add_co_ci_u32_e32 v26, vcc_lo, v1, v26, vcc_lo
	s_wait_dscnt 0x3
	global_store_b128 v[21:22], v[3:6], off
	s_wait_dscnt 0x2
	global_store_b128 v[19:20], v[7:10], off
	;; [unrolled: 2-line block ×4, first 2 shown]
	v_lshlrev_b64_e32 v[19:20], 4, v[40:41]
	v_add_nc_u32_e32 v40, s3, v40
	ds_load_b128 v[3:6], v2 offset:1360
	ds_load_b128 v[7:10], v2 offset:1632
	;; [unrolled: 1-line block ×4, first 2 shown]
	v_add_co_u32 v21, vcc_lo, v0, v27
	v_lshlrev_b64_e32 v[23:24], 4, v[40:41]
	v_add_nc_u32_e32 v40, s3, v40
	s_wait_alu 0xfffd
	v_add_co_ci_u32_e32 v22, vcc_lo, v1, v28, vcc_lo
	v_add_co_u32 v19, vcc_lo, v0, v19
	s_delay_alu instid0(VALU_DEP_3)
	v_lshlrev_b64_e32 v[25:26], 4, v[40:41]
	s_wait_alu 0xfffd
	v_add_co_ci_u32_e32 v20, vcc_lo, v1, v20, vcc_lo
	v_add_co_u32 v23, vcc_lo, v0, v23
	s_wait_alu 0xfffd
	v_add_co_ci_u32_e32 v24, vcc_lo, v1, v24, vcc_lo
	v_add_nc_u32_e32 v40, s3, v40
	v_add_co_u32 v25, vcc_lo, v0, v25
	s_wait_alu 0xfffd
	v_add_co_ci_u32_e32 v26, vcc_lo, v1, v26, vcc_lo
	s_delay_alu instid0(VALU_DEP_3)
	v_lshlrev_b64_e32 v[27:28], 4, v[40:41]
	v_add_nc_u32_e32 v40, s3, v40
	s_wait_dscnt 0x3
	global_store_b128 v[21:22], v[3:6], off
	s_wait_dscnt 0x2
	global_store_b128 v[19:20], v[7:10], off
	;; [unrolled: 2-line block ×4, first 2 shown]
	ds_load_b128 v[3:6], v2 offset:2448
	ds_load_b128 v[7:10], v2 offset:2720
	;; [unrolled: 1-line block ×4, first 2 shown]
	s_mov_b32 s0, exec_lo
	v_lshlrev_b64_e32 v[19:20], 4, v[40:41]
	v_add_nc_u32_e32 v40, s3, v40
	v_add_co_u32 v21, vcc_lo, v0, v27
	s_wait_alu 0xfffd
	v_add_co_ci_u32_e32 v22, vcc_lo, v1, v28, vcc_lo
	s_delay_alu instid0(VALU_DEP_3) | instskip(SKIP_4) | instid1(VALU_DEP_3)
	v_lshlrev_b64_e32 v[23:24], 4, v[40:41]
	v_add_nc_u32_e32 v40, s3, v40
	v_add_co_u32 v19, vcc_lo, v0, v19
	s_wait_alu 0xfffd
	v_add_co_ci_u32_e32 v20, vcc_lo, v1, v20, vcc_lo
	v_lshlrev_b64_e32 v[25:26], 4, v[40:41]
	v_add_nc_u32_e32 v40, s3, v40
	v_add_co_u32 v23, vcc_lo, v0, v23
	s_wait_alu 0xfffd
	v_add_co_ci_u32_e32 v24, vcc_lo, v1, v24, vcc_lo
	s_wait_dscnt 0x3
	global_store_b128 v[21:22], v[3:6], off
	v_lshlrev_b64_e32 v[3:4], 4, v[40:41]
	v_add_co_u32 v25, vcc_lo, v0, v25
	s_wait_alu 0xfffd
	v_add_co_ci_u32_e32 v26, vcc_lo, v1, v26, vcc_lo
	v_add_nc_u32_e32 v40, s3, v40
	s_wait_dscnt 0x2
	global_store_b128 v[19:20], v[7:10], off
	s_wait_dscnt 0x1
	global_store_b128 v[23:24], v[11:14], off
	;; [unrolled: 2-line block ×3, first 2 shown]
	v_add_co_u32 v19, vcc_lo, v0, v3
	s_wait_alu 0xfffd
	v_add_co_ci_u32_e32 v20, vcc_lo, v1, v4, vcc_lo
	v_lshlrev_b64_e32 v[21:22], 4, v[40:41]
	v_add_nc_u32_e32 v40, s3, v40
	ds_load_b128 v[3:6], v2 offset:3536
	ds_load_b128 v[7:10], v2 offset:3808
	ds_load_b128 v[11:14], v2 offset:4080
	ds_load_b128 v[15:18], v2 offset:4352
	v_lshlrev_b64_e32 v[23:24], 4, v[40:41]
	v_add_nc_u32_e32 v40, s3, v40
	v_add_co_u32 v21, vcc_lo, v0, v21
	s_wait_alu 0xfffd
	v_add_co_ci_u32_e32 v22, vcc_lo, v1, v22, vcc_lo
	s_delay_alu instid0(VALU_DEP_3) | instskip(SKIP_3) | instid1(VALU_DEP_3)
	v_lshlrev_b64_e32 v[25:26], 4, v[40:41]
	v_add_co_u32 v23, vcc_lo, v0, v23
	s_wait_alu 0xfffd
	v_add_co_ci_u32_e32 v24, vcc_lo, v1, v24, vcc_lo
	v_add_co_u32 v25, vcc_lo, v0, v25
	s_wait_alu 0xfffd
	v_add_co_ci_u32_e32 v26, vcc_lo, v1, v26, vcc_lo
	s_wait_dscnt 0x3
	global_store_b128 v[19:20], v[3:6], off
	s_wait_dscnt 0x2
	global_store_b128 v[21:22], v[7:10], off
	;; [unrolled: 2-line block ×4, first 2 shown]
	v_cmpx_gt_u32_e32 7, v62
	s_cbranch_execz .LBB0_2
; %bb.1:
	ds_load_b128 v[2:5], v2 offset:4624
	v_add_nc_u32_e32 v40, s3, v40
	s_delay_alu instid0(VALU_DEP_1) | instskip(NEXT) | instid1(VALU_DEP_1)
	v_lshlrev_b64_e32 v[6:7], 4, v[40:41]
	v_add_co_u32 v0, vcc_lo, v0, v6
	s_wait_alu 0xfffd
	s_delay_alu instid0(VALU_DEP_2)
	v_add_co_ci_u32_e32 v1, vcc_lo, v1, v7, vcc_lo
	s_wait_dscnt 0x0
	global_store_b128 v[0:1], v[2:5], off
.LBB0_2:
	s_nop 0
	s_sendmsg sendmsg(MSG_DEALLOC_VGPRS)
	s_endpgm
	.section	.rodata,"a",@progbits
	.p2align	6, 0x0
	.amdhsa_kernel fft_rtc_back_len289_factors_17_17_wgs_119_tpt_17_dp_op_CI_CI_sbrc_erc_z_xy_aligned
		.amdhsa_group_segment_fixed_size 0
		.amdhsa_private_segment_fixed_size 436
		.amdhsa_kernarg_size 104
		.amdhsa_user_sgpr_count 2
		.amdhsa_user_sgpr_dispatch_ptr 0
		.amdhsa_user_sgpr_queue_ptr 0
		.amdhsa_user_sgpr_kernarg_segment_ptr 1
		.amdhsa_user_sgpr_dispatch_id 0
		.amdhsa_user_sgpr_private_segment_size 0
		.amdhsa_wavefront_size32 1
		.amdhsa_uses_dynamic_stack 0
		.amdhsa_enable_private_segment 1
		.amdhsa_system_sgpr_workgroup_id_x 1
		.amdhsa_system_sgpr_workgroup_id_y 0
		.amdhsa_system_sgpr_workgroup_id_z 0
		.amdhsa_system_sgpr_workgroup_info 0
		.amdhsa_system_vgpr_workitem_id 0
		.amdhsa_next_free_vgpr 256
		.amdhsa_next_free_sgpr 66
		.amdhsa_reserve_vcc 1
		.amdhsa_float_round_mode_32 0
		.amdhsa_float_round_mode_16_64 0
		.amdhsa_float_denorm_mode_32 3
		.amdhsa_float_denorm_mode_16_64 3
		.amdhsa_fp16_overflow 0
		.amdhsa_workgroup_processor_mode 1
		.amdhsa_memory_ordered 1
		.amdhsa_forward_progress 0
		.amdhsa_round_robin_scheduling 0
		.amdhsa_exception_fp_ieee_invalid_op 0
		.amdhsa_exception_fp_denorm_src 0
		.amdhsa_exception_fp_ieee_div_zero 0
		.amdhsa_exception_fp_ieee_overflow 0
		.amdhsa_exception_fp_ieee_underflow 0
		.amdhsa_exception_fp_ieee_inexact 0
		.amdhsa_exception_int_div_zero 0
	.end_amdhsa_kernel
	.text
.Lfunc_end0:
	.size	fft_rtc_back_len289_factors_17_17_wgs_119_tpt_17_dp_op_CI_CI_sbrc_erc_z_xy_aligned, .Lfunc_end0-fft_rtc_back_len289_factors_17_17_wgs_119_tpt_17_dp_op_CI_CI_sbrc_erc_z_xy_aligned
                                        ; -- End function
	.section	.AMDGPU.csdata,"",@progbits
; Kernel info:
; codeLenInByte = 17148
; NumSgprs: 68
; NumVgprs: 256
; ScratchSize: 436
; MemoryBound: 0
; FloatMode: 240
; IeeeMode: 1
; LDSByteSize: 0 bytes/workgroup (compile time only)
; SGPRBlocks: 8
; VGPRBlocks: 31
; NumSGPRsForWavesPerEU: 68
; NumVGPRsForWavesPerEU: 256
; Occupancy: 5
; WaveLimiterHint : 1
; COMPUTE_PGM_RSRC2:SCRATCH_EN: 1
; COMPUTE_PGM_RSRC2:USER_SGPR: 2
; COMPUTE_PGM_RSRC2:TRAP_HANDLER: 0
; COMPUTE_PGM_RSRC2:TGID_X_EN: 1
; COMPUTE_PGM_RSRC2:TGID_Y_EN: 0
; COMPUTE_PGM_RSRC2:TGID_Z_EN: 0
; COMPUTE_PGM_RSRC2:TIDIG_COMP_CNT: 0
	.text
	.p2alignl 7, 3214868480
	.fill 96, 4, 3214868480
	.type	__hip_cuid_50adca293b3de75,@object ; @__hip_cuid_50adca293b3de75
	.section	.bss,"aw",@nobits
	.globl	__hip_cuid_50adca293b3de75
__hip_cuid_50adca293b3de75:
	.byte	0                               ; 0x0
	.size	__hip_cuid_50adca293b3de75, 1

	.ident	"AMD clang version 19.0.0git (https://github.com/RadeonOpenCompute/llvm-project roc-6.4.0 25133 c7fe45cf4b819c5991fe208aaa96edf142730f1d)"
	.section	".note.GNU-stack","",@progbits
	.addrsig
	.addrsig_sym __hip_cuid_50adca293b3de75
	.amdgpu_metadata
---
amdhsa.kernels:
  - .args:
      - .actual_access:  read_only
        .address_space:  global
        .offset:         0
        .size:           8
        .value_kind:     global_buffer
      - .offset:         8
        .size:           8
        .value_kind:     by_value
      - .actual_access:  read_only
        .address_space:  global
        .offset:         16
        .size:           8
        .value_kind:     global_buffer
      - .actual_access:  read_only
        .address_space:  global
        .offset:         24
        .size:           8
        .value_kind:     global_buffer
      - .actual_access:  read_only
        .address_space:  global
        .offset:         32
        .size:           8
        .value_kind:     global_buffer
      - .offset:         40
        .size:           8
        .value_kind:     by_value
      - .actual_access:  read_only
        .address_space:  global
        .offset:         48
        .size:           8
        .value_kind:     global_buffer
      - .actual_access:  read_only
        .address_space:  global
        .offset:         56
        .size:           8
        .value_kind:     global_buffer
      - .offset:         64
        .size:           4
        .value_kind:     by_value
      - .actual_access:  read_only
        .address_space:  global
        .offset:         72
        .size:           8
        .value_kind:     global_buffer
      - .actual_access:  read_only
        .address_space:  global
        .offset:         80
        .size:           8
        .value_kind:     global_buffer
      - .actual_access:  read_only
        .address_space:  global
        .offset:         88
        .size:           8
        .value_kind:     global_buffer
      - .actual_access:  write_only
        .address_space:  global
        .offset:         96
        .size:           8
        .value_kind:     global_buffer
    .group_segment_fixed_size: 0
    .kernarg_segment_align: 8
    .kernarg_segment_size: 104
    .language:       OpenCL C
    .language_version:
      - 2
      - 0
    .max_flat_workgroup_size: 119
    .name:           fft_rtc_back_len289_factors_17_17_wgs_119_tpt_17_dp_op_CI_CI_sbrc_erc_z_xy_aligned
    .private_segment_fixed_size: 436
    .sgpr_count:     68
    .sgpr_spill_count: 0
    .symbol:         fft_rtc_back_len289_factors_17_17_wgs_119_tpt_17_dp_op_CI_CI_sbrc_erc_z_xy_aligned.kd
    .uniform_work_group_size: 1
    .uses_dynamic_stack: false
    .vgpr_count:     256
    .vgpr_spill_count: 124
    .wavefront_size: 32
    .workgroup_processor_mode: 1
amdhsa.target:   amdgcn-amd-amdhsa--gfx1201
amdhsa.version:
  - 1
  - 2
...

	.end_amdgpu_metadata
